;; amdgpu-corpus repo=ROCm/rocFFT kind=compiled arch=gfx1100 opt=O3
	.text
	.amdgcn_target "amdgcn-amd-amdhsa--gfx1100"
	.amdhsa_code_object_version 6
	.protected	fft_rtc_back_len2023_factors_17_7_17_wgs_119_tpt_119_halfLds_dp_op_CI_CI_sbrr_dirReg ; -- Begin function fft_rtc_back_len2023_factors_17_7_17_wgs_119_tpt_119_halfLds_dp_op_CI_CI_sbrr_dirReg
	.globl	fft_rtc_back_len2023_factors_17_7_17_wgs_119_tpt_119_halfLds_dp_op_CI_CI_sbrr_dirReg
	.p2align	8
	.type	fft_rtc_back_len2023_factors_17_7_17_wgs_119_tpt_119_halfLds_dp_op_CI_CI_sbrr_dirReg,@function
fft_rtc_back_len2023_factors_17_7_17_wgs_119_tpt_119_halfLds_dp_op_CI_CI_sbrr_dirReg: ; @fft_rtc_back_len2023_factors_17_7_17_wgs_119_tpt_119_halfLds_dp_op_CI_CI_sbrr_dirReg
; %bb.0:
	s_clause 0x2
	s_load_b128 s[16:19], s[0:1], 0x18
	s_load_b128 s[8:11], s[0:1], 0x0
	;; [unrolled: 1-line block ×3, first 2 shown]
	v_mul_u32_u24_e32 v1, 0x227, v0
	v_mov_b32_e32 v4, 0
	v_mov_b32_e32 v5, 0
	s_waitcnt lgkmcnt(0)
	s_load_b64 s[20:21], s[16:17], 0x0
	s_load_b64 s[12:13], s[18:19], 0x0
	v_lshrrev_b32_e32 v2, 16, v1
	v_mov_b32_e32 v1, 0
	v_cmp_lt_u64_e64 s2, s[10:11], 2
	s_delay_alu instid0(VALU_DEP_2) | instskip(NEXT) | instid1(VALU_DEP_2)
	v_dual_mov_b32 v7, v1 :: v_dual_add_nc_u32 v6, s15, v2
	s_and_b32 vcc_lo, exec_lo, s2
	s_cbranch_vccnz .LBB0_8
; %bb.1:
	s_load_b64 s[2:3], s[0:1], 0x10
	v_mov_b32_e32 v4, 0
	v_mov_b32_e32 v5, 0
	s_add_u32 s14, s18, 8
	s_addc_u32 s15, s19, 0
	s_add_u32 s22, s16, 8
	s_addc_u32 s23, s17, 0
	v_dual_mov_b32 v93, v5 :: v_dual_mov_b32 v92, v4
	s_mov_b64 s[26:27], 1
	s_waitcnt lgkmcnt(0)
	s_add_u32 s24, s2, 8
	s_addc_u32 s25, s3, 0
.LBB0_2:                                ; =>This Inner Loop Header: Depth=1
	s_load_b64 s[28:29], s[24:25], 0x0
                                        ; implicit-def: $vgpr94_vgpr95
	s_mov_b32 s2, exec_lo
	s_waitcnt lgkmcnt(0)
	v_or_b32_e32 v2, s29, v7
	s_delay_alu instid0(VALU_DEP_1)
	v_cmpx_ne_u64_e32 0, v[1:2]
	s_xor_b32 s3, exec_lo, s2
	s_cbranch_execz .LBB0_4
; %bb.3:                                ;   in Loop: Header=BB0_2 Depth=1
	v_cvt_f32_u32_e32 v2, s28
	v_cvt_f32_u32_e32 v3, s29
	s_sub_u32 s2, 0, s28
	s_subb_u32 s30, 0, s29
	s_delay_alu instid0(VALU_DEP_1) | instskip(NEXT) | instid1(VALU_DEP_1)
	v_fmac_f32_e32 v2, 0x4f800000, v3
	v_rcp_f32_e32 v2, v2
	s_waitcnt_depctr 0xfff
	v_mul_f32_e32 v2, 0x5f7ffffc, v2
	s_delay_alu instid0(VALU_DEP_1) | instskip(NEXT) | instid1(VALU_DEP_1)
	v_mul_f32_e32 v3, 0x2f800000, v2
	v_trunc_f32_e32 v3, v3
	s_delay_alu instid0(VALU_DEP_1) | instskip(SKIP_1) | instid1(VALU_DEP_2)
	v_fmac_f32_e32 v2, 0xcf800000, v3
	v_cvt_u32_f32_e32 v3, v3
	v_cvt_u32_f32_e32 v2, v2
	s_delay_alu instid0(VALU_DEP_2) | instskip(NEXT) | instid1(VALU_DEP_2)
	v_mul_lo_u32 v8, s2, v3
	v_mul_hi_u32 v9, s2, v2
	v_mul_lo_u32 v10, s30, v2
	s_delay_alu instid0(VALU_DEP_2) | instskip(SKIP_1) | instid1(VALU_DEP_2)
	v_add_nc_u32_e32 v8, v9, v8
	v_mul_lo_u32 v9, s2, v2
	v_add_nc_u32_e32 v8, v8, v10
	s_delay_alu instid0(VALU_DEP_2) | instskip(NEXT) | instid1(VALU_DEP_2)
	v_mul_hi_u32 v10, v2, v9
	v_mul_lo_u32 v11, v2, v8
	v_mul_hi_u32 v12, v2, v8
	v_mul_hi_u32 v13, v3, v9
	v_mul_lo_u32 v9, v3, v9
	v_mul_hi_u32 v14, v3, v8
	v_mul_lo_u32 v8, v3, v8
	v_add_co_u32 v10, vcc_lo, v10, v11
	v_add_co_ci_u32_e32 v11, vcc_lo, 0, v12, vcc_lo
	s_delay_alu instid0(VALU_DEP_2) | instskip(NEXT) | instid1(VALU_DEP_2)
	v_add_co_u32 v9, vcc_lo, v10, v9
	v_add_co_ci_u32_e32 v9, vcc_lo, v11, v13, vcc_lo
	v_add_co_ci_u32_e32 v10, vcc_lo, 0, v14, vcc_lo
	s_delay_alu instid0(VALU_DEP_2) | instskip(NEXT) | instid1(VALU_DEP_2)
	v_add_co_u32 v8, vcc_lo, v9, v8
	v_add_co_ci_u32_e32 v9, vcc_lo, 0, v10, vcc_lo
	s_delay_alu instid0(VALU_DEP_2) | instskip(NEXT) | instid1(VALU_DEP_2)
	v_add_co_u32 v2, vcc_lo, v2, v8
	v_add_co_ci_u32_e32 v3, vcc_lo, v3, v9, vcc_lo
	s_delay_alu instid0(VALU_DEP_2) | instskip(SKIP_1) | instid1(VALU_DEP_3)
	v_mul_hi_u32 v8, s2, v2
	v_mul_lo_u32 v10, s30, v2
	v_mul_lo_u32 v9, s2, v3
	s_delay_alu instid0(VALU_DEP_1) | instskip(SKIP_1) | instid1(VALU_DEP_2)
	v_add_nc_u32_e32 v8, v8, v9
	v_mul_lo_u32 v9, s2, v2
	v_add_nc_u32_e32 v8, v8, v10
	s_delay_alu instid0(VALU_DEP_2) | instskip(NEXT) | instid1(VALU_DEP_2)
	v_mul_hi_u32 v10, v2, v9
	v_mul_lo_u32 v11, v2, v8
	v_mul_hi_u32 v12, v2, v8
	v_mul_hi_u32 v13, v3, v9
	v_mul_lo_u32 v9, v3, v9
	v_mul_hi_u32 v14, v3, v8
	v_mul_lo_u32 v8, v3, v8
	v_add_co_u32 v10, vcc_lo, v10, v11
	v_add_co_ci_u32_e32 v11, vcc_lo, 0, v12, vcc_lo
	s_delay_alu instid0(VALU_DEP_2) | instskip(NEXT) | instid1(VALU_DEP_2)
	v_add_co_u32 v9, vcc_lo, v10, v9
	v_add_co_ci_u32_e32 v9, vcc_lo, v11, v13, vcc_lo
	v_add_co_ci_u32_e32 v10, vcc_lo, 0, v14, vcc_lo
	s_delay_alu instid0(VALU_DEP_2) | instskip(NEXT) | instid1(VALU_DEP_2)
	v_add_co_u32 v8, vcc_lo, v9, v8
	v_add_co_ci_u32_e32 v9, vcc_lo, 0, v10, vcc_lo
	s_delay_alu instid0(VALU_DEP_2) | instskip(NEXT) | instid1(VALU_DEP_2)
	v_add_co_u32 v10, vcc_lo, v2, v8
	v_add_co_ci_u32_e32 v12, vcc_lo, v3, v9, vcc_lo
	s_delay_alu instid0(VALU_DEP_2) | instskip(SKIP_1) | instid1(VALU_DEP_3)
	v_mul_hi_u32 v13, v6, v10
	v_mad_u64_u32 v[8:9], null, v7, v10, 0
	v_mad_u64_u32 v[2:3], null, v6, v12, 0
	;; [unrolled: 1-line block ×3, first 2 shown]
	s_delay_alu instid0(VALU_DEP_2) | instskip(NEXT) | instid1(VALU_DEP_3)
	v_add_co_u32 v2, vcc_lo, v13, v2
	v_add_co_ci_u32_e32 v3, vcc_lo, 0, v3, vcc_lo
	s_delay_alu instid0(VALU_DEP_2) | instskip(NEXT) | instid1(VALU_DEP_2)
	v_add_co_u32 v2, vcc_lo, v2, v8
	v_add_co_ci_u32_e32 v2, vcc_lo, v3, v9, vcc_lo
	v_add_co_ci_u32_e32 v3, vcc_lo, 0, v11, vcc_lo
	s_delay_alu instid0(VALU_DEP_2) | instskip(NEXT) | instid1(VALU_DEP_2)
	v_add_co_u32 v8, vcc_lo, v2, v10
	v_add_co_ci_u32_e32 v9, vcc_lo, 0, v3, vcc_lo
	s_delay_alu instid0(VALU_DEP_2) | instskip(SKIP_1) | instid1(VALU_DEP_3)
	v_mul_lo_u32 v10, s29, v8
	v_mad_u64_u32 v[2:3], null, s28, v8, 0
	v_mul_lo_u32 v11, s28, v9
	s_delay_alu instid0(VALU_DEP_2) | instskip(NEXT) | instid1(VALU_DEP_2)
	v_sub_co_u32 v2, vcc_lo, v6, v2
	v_add3_u32 v3, v3, v11, v10
	s_delay_alu instid0(VALU_DEP_1) | instskip(NEXT) | instid1(VALU_DEP_1)
	v_sub_nc_u32_e32 v10, v7, v3
	v_subrev_co_ci_u32_e64 v10, s2, s29, v10, vcc_lo
	v_add_co_u32 v11, s2, v8, 2
	s_delay_alu instid0(VALU_DEP_1) | instskip(SKIP_3) | instid1(VALU_DEP_3)
	v_add_co_ci_u32_e64 v12, s2, 0, v9, s2
	v_sub_co_u32 v13, s2, v2, s28
	v_sub_co_ci_u32_e32 v3, vcc_lo, v7, v3, vcc_lo
	v_subrev_co_ci_u32_e64 v10, s2, 0, v10, s2
	v_cmp_le_u32_e32 vcc_lo, s28, v13
	s_delay_alu instid0(VALU_DEP_3) | instskip(SKIP_1) | instid1(VALU_DEP_4)
	v_cmp_eq_u32_e64 s2, s29, v3
	v_cndmask_b32_e64 v13, 0, -1, vcc_lo
	v_cmp_le_u32_e32 vcc_lo, s29, v10
	v_cndmask_b32_e64 v14, 0, -1, vcc_lo
	v_cmp_le_u32_e32 vcc_lo, s28, v2
	;; [unrolled: 2-line block ×3, first 2 shown]
	v_cndmask_b32_e64 v15, 0, -1, vcc_lo
	v_cmp_eq_u32_e32 vcc_lo, s29, v10
	s_delay_alu instid0(VALU_DEP_2) | instskip(SKIP_3) | instid1(VALU_DEP_3)
	v_cndmask_b32_e64 v2, v15, v2, s2
	v_cndmask_b32_e32 v10, v14, v13, vcc_lo
	v_add_co_u32 v13, vcc_lo, v8, 1
	v_add_co_ci_u32_e32 v14, vcc_lo, 0, v9, vcc_lo
	v_cmp_ne_u32_e32 vcc_lo, 0, v10
	s_delay_alu instid0(VALU_DEP_2) | instskip(SKIP_1) | instid1(VALU_DEP_2)
	v_dual_cndmask_b32 v3, v14, v12 :: v_dual_cndmask_b32 v10, v13, v11
	v_cmp_ne_u32_e32 vcc_lo, 0, v2
	v_dual_cndmask_b32 v95, v9, v3 :: v_dual_cndmask_b32 v94, v8, v10
.LBB0_4:                                ;   in Loop: Header=BB0_2 Depth=1
	s_and_not1_saveexec_b32 s2, s3
	s_cbranch_execz .LBB0_6
; %bb.5:                                ;   in Loop: Header=BB0_2 Depth=1
	v_cvt_f32_u32_e32 v2, s28
	s_sub_i32 s3, 0, s28
	v_mov_b32_e32 v95, v1
	s_delay_alu instid0(VALU_DEP_2) | instskip(SKIP_2) | instid1(VALU_DEP_1)
	v_rcp_iflag_f32_e32 v2, v2
	s_waitcnt_depctr 0xfff
	v_mul_f32_e32 v2, 0x4f7ffffe, v2
	v_cvt_u32_f32_e32 v2, v2
	s_delay_alu instid0(VALU_DEP_1) | instskip(NEXT) | instid1(VALU_DEP_1)
	v_mul_lo_u32 v3, s3, v2
	v_mul_hi_u32 v3, v2, v3
	s_delay_alu instid0(VALU_DEP_1) | instskip(NEXT) | instid1(VALU_DEP_1)
	v_add_nc_u32_e32 v2, v2, v3
	v_mul_hi_u32 v2, v6, v2
	s_delay_alu instid0(VALU_DEP_1) | instskip(SKIP_1) | instid1(VALU_DEP_2)
	v_mul_lo_u32 v3, v2, s28
	v_add_nc_u32_e32 v8, 1, v2
	v_sub_nc_u32_e32 v3, v6, v3
	s_delay_alu instid0(VALU_DEP_1) | instskip(SKIP_1) | instid1(VALU_DEP_2)
	v_subrev_nc_u32_e32 v9, s28, v3
	v_cmp_le_u32_e32 vcc_lo, s28, v3
	v_dual_cndmask_b32 v3, v3, v9 :: v_dual_cndmask_b32 v2, v2, v8
	s_delay_alu instid0(VALU_DEP_1) | instskip(NEXT) | instid1(VALU_DEP_2)
	v_cmp_le_u32_e32 vcc_lo, s28, v3
	v_add_nc_u32_e32 v8, 1, v2
	s_delay_alu instid0(VALU_DEP_1)
	v_cndmask_b32_e32 v94, v2, v8, vcc_lo
.LBB0_6:                                ;   in Loop: Header=BB0_2 Depth=1
	s_or_b32 exec_lo, exec_lo, s2
	s_delay_alu instid0(VALU_DEP_1) | instskip(NEXT) | instid1(VALU_DEP_2)
	v_mul_lo_u32 v8, v95, s28
	v_mul_lo_u32 v9, v94, s29
	s_load_b64 s[2:3], s[22:23], 0x0
	v_mad_u64_u32 v[2:3], null, v94, s28, 0
	s_load_b64 s[28:29], s[14:15], 0x0
	s_add_u32 s26, s26, 1
	s_addc_u32 s27, s27, 0
	s_add_u32 s14, s14, 8
	s_addc_u32 s15, s15, 0
	s_add_u32 s22, s22, 8
	s_delay_alu instid0(VALU_DEP_1) | instskip(SKIP_3) | instid1(VALU_DEP_2)
	v_add3_u32 v3, v3, v9, v8
	v_sub_co_u32 v8, vcc_lo, v6, v2
	s_addc_u32 s23, s23, 0
	s_add_u32 s24, s24, 8
	v_sub_co_ci_u32_e32 v6, vcc_lo, v7, v3, vcc_lo
	s_addc_u32 s25, s25, 0
	s_waitcnt lgkmcnt(0)
	s_delay_alu instid0(VALU_DEP_1)
	v_mul_lo_u32 v9, s2, v6
	v_mul_lo_u32 v10, s3, v8
	v_mad_u64_u32 v[2:3], null, s2, v8, v[4:5]
	v_mul_lo_u32 v11, s28, v6
	v_mul_lo_u32 v12, s29, v8
	v_mad_u64_u32 v[6:7], null, s28, v8, v[92:93]
	v_cmp_ge_u64_e64 s2, s[26:27], s[10:11]
	v_add3_u32 v5, v10, v3, v9
	v_mov_b32_e32 v4, v2
	s_delay_alu instid0(VALU_DEP_4)
	v_add3_u32 v93, v12, v7, v11
	v_mov_b32_e32 v92, v6
	s_and_b32 vcc_lo, exec_lo, s2
	s_cbranch_vccnz .LBB0_9
; %bb.7:                                ;   in Loop: Header=BB0_2 Depth=1
	v_dual_mov_b32 v6, v94 :: v_dual_mov_b32 v7, v95
	s_branch .LBB0_2
.LBB0_8:
	v_dual_mov_b32 v93, v5 :: v_dual_mov_b32 v92, v4
	s_delay_alu instid0(VALU_DEP_2)
	v_dual_mov_b32 v95, v7 :: v_dual_mov_b32 v94, v6
.LBB0_9:
	s_load_b64 s[0:1], s[0:1], 0x28
	v_mul_hi_u32 v1, 0x226b903, v0
	s_lshl_b64 s[10:11], s[10:11], 3
                                        ; implicit-def: $sgpr14
                                        ; implicit-def: $vgpr114
                                        ; implicit-def: $vgpr116
                                        ; implicit-def: $vgpr115
	s_delay_alu instid0(SALU_CYCLE_1) | instskip(SKIP_4) | instid1(VALU_DEP_1)
	s_add_u32 s2, s18, s10
	s_addc_u32 s3, s19, s11
	s_waitcnt lgkmcnt(0)
	v_cmp_gt_u64_e32 vcc_lo, s[0:1], v[94:95]
	v_cmp_le_u64_e64 s0, s[0:1], v[94:95]
	s_and_saveexec_b32 s1, s0
	s_delay_alu instid0(SALU_CYCLE_1)
	s_xor_b32 s0, exec_lo, s1
; %bb.10:
	v_mul_u32_u24_e32 v1, 0x77, v1
	s_mov_b32 s14, 0
                                        ; implicit-def: $vgpr4_vgpr5
	s_delay_alu instid0(VALU_DEP_1) | instskip(NEXT) | instid1(VALU_DEP_1)
	v_sub_nc_u32_e32 v114, v0, v1
                                        ; implicit-def: $vgpr1
                                        ; implicit-def: $vgpr0
	v_add_nc_u32_e32 v116, 0x77, v114
	v_add_nc_u32_e32 v115, 0xee, v114
; %bb.11:
	s_or_saveexec_b32 s1, s0
	v_mov_b32_e32 v196, s14
                                        ; implicit-def: $vgpr6_vgpr7
                                        ; implicit-def: $vgpr10_vgpr11
                                        ; implicit-def: $vgpr14_vgpr15
                                        ; implicit-def: $vgpr18_vgpr19
                                        ; implicit-def: $vgpr22_vgpr23
                                        ; implicit-def: $vgpr30_vgpr31
                                        ; implicit-def: $vgpr38_vgpr39
                                        ; implicit-def: $vgpr26_vgpr27
                                        ; implicit-def: $vgpr34_vgpr35
                                        ; implicit-def: $vgpr42_vgpr43
                                        ; implicit-def: $vgpr54_vgpr55
                                        ; implicit-def: $vgpr50_vgpr51
                                        ; implicit-def: $vgpr58_vgpr59
                                        ; implicit-def: $vgpr62_vgpr63
                                        ; implicit-def: $vgpr66_vgpr67
                                        ; implicit-def: $vgpr46_vgpr47
                                        ; implicit-def: $vgpr2_vgpr3
	s_xor_b32 exec_lo, exec_lo, s1
	s_cbranch_execz .LBB0_13
; %bb.12:
	s_add_u32 s10, s16, s10
	s_addc_u32 s11, s17, s11
	v_mul_u32_u24_e32 v1, 0x77, v1
	s_load_b64 s[10:11], s[10:11], 0x0
	v_lshlrev_b64 v[4:5], 4, v[4:5]
	s_delay_alu instid0(VALU_DEP_2) | instskip(NEXT) | instid1(VALU_DEP_1)
	v_sub_nc_u32_e32 v114, v0, v1
	v_mad_u64_u32 v[0:1], null, s20, v114, 0
	v_add_nc_u32_e32 v16, 0x165, v114
	v_add_nc_u32_e32 v17, 0x1dc, v114
	v_dual_mov_b32 v196, v114 :: v_dual_add_nc_u32 v19, 0x2ca, v114
	v_add_nc_u32_e32 v20, 0x341, v114
	v_add_nc_u32_e32 v69, 0x770, v114
	s_waitcnt lgkmcnt(0)
	v_mad_u64_u32 v[2:3], null, s10, v94, 0
	v_mul_lo_u32 v12, s11, v94
	v_mul_lo_u32 v13, s10, v95
	s_delay_alu instid0(VALU_DEP_3) | instskip(SKIP_1) | instid1(VALU_DEP_3)
	v_mad_u64_u32 v[10:11], null, s21, v114, v[1:2]
	v_add_nc_u32_e32 v116, 0x77, v114
	v_add3_u32 v3, v3, v13, v12
	v_mad_u64_u32 v[11:12], null, s20, v16, 0
	v_add_nc_u32_e32 v115, 0xee, v114
	v_mov_b32_e32 v1, v10
	v_mad_u64_u32 v[6:7], null, s20, v116, 0
	s_delay_alu instid0(VALU_DEP_3) | instskip(SKIP_1) | instid1(VALU_DEP_4)
	v_mad_u64_u32 v[8:9], null, s20, v115, 0
	v_lshlrev_b64 v[2:3], 4, v[2:3]
	v_lshlrev_b64 v[0:1], 4, v[0:1]
	s_delay_alu instid0(VALU_DEP_3) | instskip(NEXT) | instid1(VALU_DEP_3)
	v_mad_u64_u32 v[13:14], null, s21, v116, v[7:8]
	v_add_co_u32 v2, s0, s4, v2
	s_delay_alu instid0(VALU_DEP_1) | instskip(NEXT) | instid1(VALU_DEP_2)
	v_add_co_ci_u32_e64 v3, s0, s5, v3, s0
	v_add_co_u32 v21, s0, v2, v4
	s_delay_alu instid0(VALU_DEP_4) | instskip(NEXT) | instid1(VALU_DEP_3)
	v_mov_b32_e32 v7, v13
	v_add_co_ci_u32_e64 v22, s0, v3, v5, s0
	s_delay_alu instid0(VALU_DEP_3) | instskip(NEXT) | instid1(VALU_DEP_3)
	v_add_co_u32 v0, s0, v21, v0
	v_lshlrev_b64 v[2:3], 4, v[6:7]
	s_delay_alu instid0(VALU_DEP_3) | instskip(SKIP_1) | instid1(VALU_DEP_3)
	v_add_co_ci_u32_e64 v1, s0, v22, v1, s0
	v_mad_u64_u32 v[6:7], null, s20, v17, 0
	v_add_co_u32 v4, s0, v21, v2
	v_mov_b32_e32 v2, v12
	v_mad_u64_u32 v[14:15], null, s21, v115, v[9:10]
	v_add_nc_u32_e32 v15, 0x253, v114
	v_add_co_ci_u32_e64 v5, s0, v22, v3, s0
	s_delay_alu instid0(VALU_DEP_4) | instskip(SKIP_4) | instid1(VALU_DEP_1)
	v_mad_u64_u32 v[12:13], null, s21, v16, v[2:3]
	s_clause 0x1
	global_load_b128 v[0:3], v[0:1], off
	global_load_b128 v[44:47], v[4:5], off
	v_mov_b32_e32 v9, v14
	v_lshlrev_b64 v[4:5], 4, v[8:9]
	v_mad_u64_u32 v[8:9], null, s20, v15, 0
	v_lshlrev_b64 v[10:11], 4, v[11:12]
	s_delay_alu instid0(VALU_DEP_3) | instskip(NEXT) | instid1(VALU_DEP_1)
	v_add_co_u32 v4, s0, v21, v4
	v_add_co_ci_u32_e64 v5, s0, v22, v5, s0
	s_delay_alu instid0(VALU_DEP_4) | instskip(NEXT) | instid1(VALU_DEP_1)
	v_mad_u64_u32 v[13:14], null, s21, v17, v[7:8]
	v_mov_b32_e32 v7, v13
	v_mad_u64_u32 v[12:13], null, s21, v15, v[9:10]
	v_mad_u64_u32 v[13:14], null, s20, v19, 0
	;; [unrolled: 1-line block ×3, first 2 shown]
	v_add_co_u32 v10, s0, v21, v10
	s_delay_alu instid0(VALU_DEP_4) | instskip(SKIP_2) | instid1(VALU_DEP_3)
	v_mov_b32_e32 v9, v12
	v_add_co_ci_u32_e64 v11, s0, v22, v11, s0
	v_mov_b32_e32 v12, v14
	v_lshlrev_b64 v[8:9], 4, v[8:9]
	s_delay_alu instid0(VALU_DEP_2) | instskip(SKIP_1) | instid1(VALU_DEP_2)
	v_mad_u64_u32 v[17:18], null, s21, v19, v[12:13]
	v_mov_b32_e32 v12, v16
	v_mov_b32_e32 v14, v17
	s_delay_alu instid0(VALU_DEP_2) | instskip(SKIP_2) | instid1(VALU_DEP_1)
	v_mad_u64_u32 v[16:17], null, s21, v20, v[12:13]
	v_add_nc_u32_e32 v20, 0x42f, v114
	v_lshlrev_b64 v[6:7], 4, v[6:7]
	v_add_co_u32 v6, s0, v21, v6
	s_delay_alu instid0(VALU_DEP_1) | instskip(SKIP_1) | instid1(VALU_DEP_1)
	v_add_co_ci_u32_e64 v7, s0, v22, v7, s0
	v_add_co_u32 v8, s0, v21, v8
	v_add_co_ci_u32_e64 v9, s0, v22, v9, s0
	s_clause 0x3
	global_load_b128 v[64:67], v[4:5], off
	global_load_b128 v[60:63], v[10:11], off
	;; [unrolled: 1-line block ×4, first 2 shown]
	v_mad_u64_u32 v[7:8], null, s20, v20, 0
	v_add_nc_u32_e32 v19, 0x3b8, v114
	v_lshlrev_b64 v[4:5], 4, v[13:14]
	v_lshlrev_b64 v[9:10], 4, v[15:16]
	s_delay_alu instid0(VALU_DEP_3) | instskip(NEXT) | instid1(VALU_DEP_3)
	v_mad_u64_u32 v[17:18], null, s20, v19, 0
	v_add_co_u32 v4, s0, v21, v4
	s_delay_alu instid0(VALU_DEP_1) | instskip(NEXT) | instid1(VALU_DEP_3)
	v_add_co_ci_u32_e64 v5, s0, v22, v5, s0
	v_mov_b32_e32 v6, v18
	s_delay_alu instid0(VALU_DEP_1) | instskip(SKIP_2) | instid1(VALU_DEP_1)
	v_mad_u64_u32 v[11:12], null, s21, v19, v[6:7]
	v_dual_mov_b32 v6, v8 :: v_dual_add_nc_u32 v23, 0x4a6, v114
	v_add_co_u32 v8, s0, v21, v9
	v_add_co_ci_u32_e64 v9, s0, v22, v10, s0
	s_delay_alu instid0(VALU_DEP_4) | instskip(NEXT) | instid1(VALU_DEP_4)
	v_mov_b32_e32 v18, v11
	v_mad_u64_u32 v[12:13], null, s20, v23, 0
	v_add_nc_u32_e32 v19, 0x51d, v114
	v_mad_u64_u32 v[10:11], null, s21, v20, v[6:7]
	s_clause 0x1
	global_load_b128 v[52:55], v[4:5], off
	global_load_b128 v[40:43], v[8:9], off
	v_lshlrev_b64 v[4:5], 4, v[17:18]
	v_mov_b32_e32 v6, v13
	v_mad_u64_u32 v[14:15], null, s20, v19, 0
	s_delay_alu instid0(VALU_DEP_3) | instskip(NEXT) | instid1(VALU_DEP_3)
	v_add_co_u32 v4, s0, v21, v4
	v_mad_u64_u32 v[16:17], null, s21, v23, v[6:7]
	v_mov_b32_e32 v8, v10
	s_delay_alu instid0(VALU_DEP_4)
	v_mov_b32_e32 v6, v15
	v_add_co_ci_u32_e64 v5, s0, v22, v5, s0
	v_add_nc_u32_e32 v23, 0x682, v114
	v_mov_b32_e32 v13, v16
	v_lshlrev_b64 v[7:8], 4, v[7:8]
	v_add_nc_u32_e32 v16, 0x594, v114
	s_delay_alu instid0(VALU_DEP_2) | instskip(NEXT) | instid1(VALU_DEP_4)
	v_mad_u64_u32 v[9:10], null, s21, v19, v[6:7]
	v_lshlrev_b64 v[10:11], 4, v[12:13]
	s_delay_alu instid0(VALU_DEP_3) | instskip(SKIP_1) | instid1(VALU_DEP_1)
	v_mad_u64_u32 v[12:13], null, s20, v16, 0
	v_add_co_u32 v6, s0, v21, v7
	v_add_co_ci_u32_e64 v7, s0, v22, v8, s0
	v_mov_b32_e32 v15, v9
	s_clause 0x1
	global_load_b128 v[32:35], v[4:5], off
	global_load_b128 v[24:27], v[6:7], off
	v_mov_b32_e32 v6, v13
	v_add_co_u32 v4, s0, v21, v10
	v_lshlrev_b64 v[7:8], 4, v[14:15]
	v_mad_u64_u32 v[14:15], null, s20, v23, 0
	v_add_nc_u32_e32 v20, 0x60b, v114
	v_add_co_ci_u32_e64 v5, s0, v22, v11, s0
	s_delay_alu instid0(VALU_DEP_4) | instskip(SKIP_1) | instid1(VALU_DEP_1)
	v_mad_u64_u32 v[9:10], null, s21, v16, v[6:7]
	v_add_co_u32 v6, s0, v21, v7
	v_add_co_ci_u32_e64 v7, s0, v22, v8, s0
	s_clause 0x1
	global_load_b128 v[36:39], v[4:5], off
	global_load_b128 v[28:31], v[6:7], off
	v_mov_b32_e32 v13, v9
	v_mov_b32_e32 v9, v15
	v_mad_u64_u32 v[10:11], null, s20, v20, 0
	s_delay_alu instid0(VALU_DEP_3) | instskip(NEXT) | instid1(VALU_DEP_2)
	v_lshlrev_b64 v[5:6], 4, v[12:13]
	v_mov_b32_e32 v8, v11
	s_delay_alu instid0(VALU_DEP_1) | instskip(SKIP_3) | instid1(VALU_DEP_4)
	v_mad_u64_u32 v[18:19], null, s21, v20, v[8:9]
	v_add_nc_u32_e32 v68, 0x6f9, v114
	v_mad_u64_u32 v[19:20], null, s21, v23, v[9:10]
	v_mad_u64_u32 v[8:9], null, s20, v69, 0
	v_mov_b32_e32 v11, v18
	s_delay_alu instid0(VALU_DEP_4) | instskip(NEXT) | instid1(VALU_DEP_1)
	v_mad_u64_u32 v[16:17], null, s20, v68, 0
	v_dual_mov_b32 v15, v19 :: v_dual_mov_b32 v4, v17
	s_delay_alu instid0(VALU_DEP_1)
	v_mad_u64_u32 v[12:13], null, s21, v68, v[4:5]
	v_mov_b32_e32 v4, v9
	v_add_co_u32 v5, s0, v21, v5
	v_lshlrev_b64 v[9:10], 4, v[10:11]
	v_add_co_ci_u32_e64 v6, s0, v22, v6, s0
	v_mov_b32_e32 v17, v12
	s_delay_alu instid0(VALU_DEP_4) | instskip(SKIP_2) | instid1(VALU_DEP_4)
	v_mad_u64_u32 v[18:19], null, s21, v69, v[4:5]
	v_lshlrev_b64 v[13:14], 4, v[14:15]
	v_add_co_u32 v11, s0, v21, v9
	v_lshlrev_b64 v[15:16], 4, v[16:17]
	v_add_co_ci_u32_e64 v12, s0, v22, v10, s0
	v_mov_b32_e32 v9, v18
	v_add_co_u32 v13, s0, v21, v13
	s_delay_alu instid0(VALU_DEP_1) | instskip(NEXT) | instid1(VALU_DEP_3)
	v_add_co_ci_u32_e64 v14, s0, v22, v14, s0
	v_lshlrev_b64 v[7:8], 4, v[8:9]
	v_add_co_u32 v9, s0, v21, v15
	s_delay_alu instid0(VALU_DEP_1) | instskip(NEXT) | instid1(VALU_DEP_3)
	v_add_co_ci_u32_e64 v10, s0, v22, v16, s0
	v_add_co_u32 v68, s0, v21, v7
	s_delay_alu instid0(VALU_DEP_1)
	v_add_co_ci_u32_e64 v69, s0, v22, v8, s0
	s_clause 0x4
	global_load_b128 v[20:23], v[5:6], off
	global_load_b128 v[16:19], v[11:12], off
	;; [unrolled: 1-line block ×5, first 2 shown]
.LBB0_13:
	s_or_b32 exec_lo, exec_lo, s1
	s_waitcnt vmcnt(15)
	v_add_f64 v[68:69], v[44:45], v[0:1]
	s_waitcnt vmcnt(0)
	v_add_f64 v[70:71], v[46:47], -v[6:7]
	s_mov_b32 s44, 0xeb564b22
	s_mov_b32 s26, 0x923c349f
	;; [unrolled: 1-line block ×9, first 2 shown]
	v_add_f64 v[72:73], v[4:5], v[44:45]
	v_add_f64 v[74:75], v[66:67], -v[10:11]
	s_mov_b32 s41, 0xbfc7851a
	s_mov_b32 s54, 0x7c9e640b
	;; [unrolled: 1-line block ×24, first 2 shown]
	v_add_f64 v[76:77], v[8:9], v[64:65]
	v_add_f64 v[68:69], v[64:65], v[68:69]
	v_mul_f64 v[106:107], v[70:71], s[44:45]
	v_mul_f64 v[108:109], v[70:71], s[26:27]
	;; [unrolled: 1-line block ×8, first 2 shown]
	s_mov_b32 s21, 0xbfef7484
	v_add_f64 v[78:79], v[62:63], -v[14:15]
	s_mov_b32 s16, 0x2b2883cd
	v_mul_f64 v[123:124], v[74:75], s[40:41]
	v_mul_f64 v[125:126], v[74:75], s[56:57]
	;; [unrolled: 1-line block ×8, first 2 shown]
	s_mov_b32 s22, 0x75d4884
	s_mov_b32 s24, 0x370991
	s_mov_b32 s17, 0x3fdc86fa
	s_mov_b32 s23, 0x3fe7a5f6
	s_mov_b32 s25, 0x3fedd6d0
	s_mov_b32 s37, 0x3fe58eea
	s_mov_b32 s59, 0x3fc7851a
	s_mov_b32 s36, s50
	s_mov_b32 s58, s40
	v_add_f64 v[80:81], v[12:13], v[60:61]
	v_add_f64 v[82:83], v[58:59], -v[18:19]
	s_mov_b32 s49, 0x3fe9895b
	s_mov_b32 s48, s34
	v_add_f64 v[84:85], v[16:17], v[56:57]
	v_add_f64 v[86:87], v[50:51], -v[22:23]
	s_mov_b32 s29, 0x3fefdd0d
	s_mov_b32 s28, s44
	v_add_f64 v[88:89], v[20:21], v[48:49]
	v_add_f64 v[68:69], v[60:61], v[68:69]
	v_fma_f64 v[173:174], v[72:73], s[4:5], v[106:107]
	v_fma_f64 v[175:176], v[72:73], s[10:11], v[108:109]
	;; [unrolled: 1-line block ×4, first 2 shown]
	v_fma_f64 v[110:111], v[72:73], s[14:15], -v[110:111]
	v_fma_f64 v[181:182], v[72:73], s[20:21], v[117:118]
	v_fma_f64 v[117:118], v[72:73], s[20:21], -v[117:118]
	v_fma_f64 v[112:113], v[72:73], s[18:19], -v[112:113]
	;; [unrolled: 1-line block ×4, first 2 shown]
	v_fma_f64 v[183:184], v[72:73], s[24:25], v[119:120]
	v_fma_f64 v[185:186], v[72:73], s[22:23], v[121:122]
	v_fma_f64 v[121:122], v[72:73], s[22:23], -v[121:122]
	v_fma_f64 v[187:188], v[72:73], s[16:17], -v[70:71]
	;; [unrolled: 1-line block ×3, first 2 shown]
	v_fma_f64 v[70:71], v[72:73], s[16:17], v[70:71]
	v_mul_f64 v[131:132], v[78:79], s[52:53]
	v_mul_f64 v[133:134], v[78:79], s[36:37]
	;; [unrolled: 1-line block ×8, first 2 shown]
	v_fma_f64 v[197:198], v[76:77], s[20:21], v[123:124]
	v_fma_f64 v[199:200], v[76:77], s[18:19], v[125:126]
	;; [unrolled: 1-line block ×4, first 2 shown]
	v_fma_f64 v[127:128], v[76:77], s[10:11], -v[127:128]
	v_fma_f64 v[129:130], v[76:77], s[16:17], -v[129:130]
	v_fma_f64 v[205:206], v[76:77], s[24:25], v[155:156]
	v_fma_f64 v[155:156], v[76:77], s[24:25], -v[155:156]
	v_fma_f64 v[207:208], v[76:77], s[22:23], v[159:160]
	;; [unrolled: 2-line block ×4, first 2 shown]
	v_add_f64 v[68:69], v[56:57], v[68:69]
	v_fma_f64 v[74:75], v[76:77], s[14:15], -v[74:75]
	v_fma_f64 v[123:124], v[76:77], s[20:21], -v[123:124]
	v_fma_f64 v[76:77], v[76:77], s[18:19], -v[125:126]
	v_add_f64 v[125:126], v[0:1], v[173:174]
	v_add_f64 v[173:174], v[0:1], v[175:176]
	;; [unrolled: 1-line block ×16, first 2 shown]
	v_mul_f64 v[139:140], v[82:83], s[42:43]
	v_mul_f64 v[141:142], v[82:83], s[54:55]
	;; [unrolled: 1-line block ×8, first 2 shown]
	v_fma_f64 v[217:218], v[80:81], s[10:11], v[131:132]
	v_fma_f64 v[219:220], v[80:81], s[22:23], v[133:134]
	;; [unrolled: 1-line block ×4, first 2 shown]
	v_fma_f64 v[135:136], v[80:81], s[24:25], -v[135:136]
	v_fma_f64 v[137:138], v[80:81], s[4:5], -v[137:138]
	v_fma_f64 v[225:226], v[80:81], s[18:19], v[189:190]
	v_fma_f64 v[189:190], v[80:81], s[18:19], -v[189:190]
	v_fma_f64 v[227:228], v[80:81], s[16:17], v[191:192]
	v_fma_f64 v[191:192], v[80:81], s[16:17], -v[191:192]
	v_add_f64 v[68:69], v[48:49], v[68:69]
	v_fma_f64 v[229:230], v[80:81], s[14:15], v[193:194]
	v_fma_f64 v[193:194], v[80:81], s[14:15], -v[193:194]
	v_fma_f64 v[231:232], v[80:81], s[20:21], v[78:79]
	v_fma_f64 v[78:79], v[80:81], s[20:21], -v[78:79]
	v_fma_f64 v[131:132], v[80:81], s[10:11], -v[131:132]
	;; [unrolled: 1-line block ×3, first 2 shown]
	v_add_f64 v[125:126], v[197:198], v[125:126]
	v_add_f64 v[133:134], v[199:200], v[173:174]
	;; [unrolled: 1-line block ×16, first 2 shown]
	v_add_f64 v[90:91], v[54:55], -v[30:31]
	v_mul_f64 v[147:148], v[86:87], s[54:55]
	v_mul_f64 v[149:150], v[86:87], s[40:41]
	;; [unrolled: 1-line block ×8, first 2 shown]
	v_fma_f64 v[177:178], v[84:85], s[24:25], v[139:140]
	v_fma_f64 v[179:180], v[84:85], s[16:17], v[141:142]
	;; [unrolled: 1-line block ×4, first 2 shown]
	v_fma_f64 v[143:144], v[84:85], s[18:19], -v[143:144]
	v_fma_f64 v[145:146], v[84:85], s[14:15], -v[145:146]
	v_add_f64 v[68:69], v[52:53], v[68:69]
	v_fma_f64 v[185:186], v[84:85], s[22:23], v[187:188]
	v_fma_f64 v[187:188], v[84:85], s[22:23], -v[187:188]
	v_fma_f64 v[197:198], v[84:85], s[20:21], v[213:214]
	v_fma_f64 v[199:200], v[84:85], s[20:21], -v[213:214]
	;; [unrolled: 2-line block ×3, first 2 shown]
	v_fma_f64 v[139:140], v[84:85], s[24:25], -v[139:140]
	v_fma_f64 v[141:142], v[84:85], s[16:17], -v[141:142]
	v_fma_f64 v[205:206], v[84:85], s[4:5], v[82:83]
	v_fma_f64 v[82:83], v[84:85], s[4:5], -v[82:83]
	v_add_f64 v[84:85], v[217:218], v[125:126]
	v_add_f64 v[125:126], v[219:220], v[133:134]
	;; [unrolled: 1-line block ×17, first 2 shown]
	v_add_f64 v[98:99], v[42:43], -v[38:39]
	v_mul_f64 v[157:158], v[90:91], s[38:39]
	v_mul_f64 v[161:162], v[90:91], s[28:29]
	v_fma_f64 v[155:156], v[88:89], s[16:17], v[147:148]
	v_fma_f64 v[175:176], v[88:89], s[20:21], v[149:150]
	;; [unrolled: 1-line block ×4, first 2 shown]
	v_fma_f64 v[151:152], v[88:89], s[4:5], -v[151:152]
	v_fma_f64 v[153:154], v[88:89], s[24:25], -v[153:154]
	v_fma_f64 v[193:194], v[88:89], s[14:15], v[123:124]
	v_add_f64 v[68:69], v[40:41], v[68:69]
	v_fma_f64 v[123:124], v[88:89], s[14:15], -v[123:124]
	v_fma_f64 v[207:208], v[88:89], s[18:19], v[159:160]
	v_fma_f64 v[159:160], v[88:89], s[18:19], -v[159:160]
	v_fma_f64 v[209:210], v[88:89], s[22:23], v[163:164]
	v_fma_f64 v[163:164], v[88:89], s[22:23], -v[163:164]
	v_fma_f64 v[147:148], v[88:89], s[16:17], -v[147:148]
	;; [unrolled: 1-line block ×3, first 2 shown]
	v_fma_f64 v[211:212], v[88:89], s[10:11], v[86:87]
	v_fma_f64 v[86:87], v[88:89], s[10:11], -v[86:87]
	v_mul_f64 v[165:166], v[90:91], s[50:51]
	v_add_f64 v[84:85], v[177:178], v[84:85]
	v_add_f64 v[88:89], v[179:180], v[125:126]
	v_mul_f64 v[167:168], v[90:91], s[40:41]
	v_mul_f64 v[108:109], v[90:91], s[30:31]
	;; [unrolled: 1-line block ×5, first 2 shown]
	v_add_f64 v[125:126], v[181:182], v[133:134]
	v_add_f64 v[133:134], v[183:184], v[173:174]
	;; [unrolled: 1-line block ×15, first 2 shown]
	v_add_f64 v[102:103], v[34:35], -v[26:27]
	v_mul_f64 v[169:170], v[98:99], s[48:49]
	v_mul_f64 v[171:172], v[98:99], s[46:47]
	v_fma_f64 v[145:146], v[96:97], s[18:19], v[157:158]
	v_fma_f64 v[173:174], v[96:97], s[4:5], v[161:162]
	v_add_f64 v[68:69], v[32:33], v[68:69]
	v_mul_f64 v[72:73], v[98:99], s[40:41]
	v_mul_f64 v[70:71], v[98:99], s[36:37]
	;; [unrolled: 1-line block ×6, first 2 shown]
	v_fma_f64 v[157:158], v[96:97], s[18:19], -v[157:158]
	v_fma_f64 v[161:162], v[96:97], s[4:5], -v[161:162]
	v_add_f64 v[104:105], v[24:25], v[32:33]
	v_fma_f64 v[177:178], v[96:97], s[22:23], v[165:166]
	v_add_f64 v[84:85], v[155:156], v[84:85]
	v_add_f64 v[88:89], v[175:176], v[88:89]
	v_fma_f64 v[179:180], v[96:97], s[20:21], v[167:168]
	v_fma_f64 v[165:166], v[96:97], s[22:23], -v[165:166]
	v_fma_f64 v[167:168], v[96:97], s[20:21], -v[167:168]
	v_fma_f64 v[181:182], v[96:97], s[16:17], v[108:109]
	v_fma_f64 v[108:109], v[96:97], s[16:17], -v[108:109]
	v_fma_f64 v[183:184], v[96:97], s[10:11], v[131:132]
	;; [unrolled: 2-line block ×4, first 2 shown]
	v_fma_f64 v[90:91], v[96:97], s[14:15], -v[90:91]
	v_add_f64 v[96:97], v[189:190], v[125:126]
	v_add_f64 v[125:126], v[191:192], v[133:134]
	;; [unrolled: 1-line block ×15, first 2 shown]
	v_mul_f64 v[119:120], v[102:103], s[36:37]
	v_mul_f64 v[80:81], v[102:103], s[34:35]
	v_fma_f64 v[149:150], v[100:101], s[14:15], v[169:170]
	v_fma_f64 v[151:152], v[100:101], s[24:25], v[171:172]
	v_mul_f64 v[82:83], v[102:103], s[30:31]
	v_mul_f64 v[86:87], v[102:103], s[26:27]
	v_fma_f64 v[153:154], v[100:101], s[20:21], v[72:73]
	v_fma_f64 v[155:156], v[100:101], s[22:23], v[70:71]
	v_fma_f64 v[72:73], v[100:101], s[20:21], -v[72:73]
	v_fma_f64 v[70:71], v[100:101], s[22:23], -v[70:71]
	v_add_f64 v[84:85], v[145:146], v[84:85]
	v_add_f64 v[88:89], v[173:174], v[88:89]
	v_fma_f64 v[159:160], v[100:101], s[10:11], v[139:140]
	v_fma_f64 v[139:140], v[100:101], s[10:11], -v[139:140]
	v_fma_f64 v[163:164], v[100:101], s[16:17], v[141:142]
	v_fma_f64 v[141:142], v[100:101], s[16:17], -v[141:142]
	;; [unrolled: 2-line block ×3, first 2 shown]
	v_fma_f64 v[169:170], v[100:101], s[14:15], -v[169:170]
	v_fma_f64 v[171:172], v[100:101], s[24:25], -v[171:172]
	v_fma_f64 v[189:190], v[100:101], s[18:19], v[98:99]
	v_fma_f64 v[98:99], v[100:101], s[18:19], -v[98:99]
	v_mul_f64 v[133:134], v[102:103], s[28:29]
	v_add_f64 v[96:97], v[177:178], v[96:97]
	v_add_f64 v[100:101], v[179:180], v[125:126]
	v_mul_f64 v[135:136], v[102:103], s[42:43]
	v_mul_f64 v[147:148], v[102:103], s[38:39]
	;; [unrolled: 1-line block ×3, first 2 shown]
	v_add_f64 v[110:111], v[165:166], v[110:111]
	v_add_f64 v[125:126], v[181:182], v[127:128]
	;; [unrolled: 1-line block ×13, first 2 shown]
	v_fma_f64 v[90:91], v[104:105], s[22:23], v[119:120]
	v_fma_f64 v[127:128], v[104:105], s[14:15], v[80:81]
	;; [unrolled: 1-line block ×4, first 2 shown]
	v_fma_f64 v[82:83], v[104:105], s[16:17], -v[82:83]
	v_fma_f64 v[86:87], v[104:105], s[10:11], -v[86:87]
	;; [unrolled: 1-line block ×3, first 2 shown]
	v_add_f64 v[84:85], v[149:150], v[84:85]
	v_add_f64 v[88:89], v[151:152], v[88:89]
	v_fma_f64 v[80:81], v[104:105], s[14:15], -v[80:81]
	s_load_b64 s[2:3], s[2:3], 0x0
	v_cmp_gt_u32_e64 s0, 51, v114
	v_fma_f64 v[137:138], v[104:105], s[4:5], v[133:134]
	v_add_f64 v[96:97], v[153:154], v[96:97]
	v_add_f64 v[100:101], v[155:156], v[100:101]
	v_fma_f64 v[133:134], v[104:105], s[4:5], -v[133:134]
	v_fma_f64 v[145:146], v[104:105], s[24:25], v[135:136]
	v_fma_f64 v[135:136], v[104:105], s[24:25], -v[135:136]
	v_fma_f64 v[157:158], v[104:105], s[18:19], v[147:148]
	v_fma_f64 v[147:148], v[104:105], s[18:19], -v[147:148]
	v_fma_f64 v[161:162], v[104:105], s[20:21], v[102:103]
	v_fma_f64 v[102:103], v[104:105], s[20:21], -v[102:103]
	v_add_f64 v[72:73], v[72:73], v[110:111]
	v_add_f64 v[104:105], v[159:160], v[125:126]
	;; [unrolled: 1-line block ×30, first 2 shown]
	v_mad_u32_u24 v0, 0x88, v114, 0
	v_lshlrev_b32_e32 v1, 7, v114
	v_lshl_add_u32 v118, v116, 3, 0
	v_lshl_add_u32 v119, v115, 3, 0
                                        ; implicit-def: $vgpr102_vgpr103
	s_delay_alu instid0(VALU_DEP_3) | instskip(NEXT) | instid1(VALU_DEP_1)
	v_sub_nc_u32_e32 v117, v0, v1
	v_add_nc_u32_e32 v1, 0x800, v117
	v_add_nc_u32_e32 v120, 0x1000, v117
	;; [unrolled: 1-line block ×6, first 2 shown]
	v_add_f64 v[68:69], v[16:17], v[68:69]
	s_delay_alu instid0(VALU_DEP_1) | instskip(NEXT) | instid1(VALU_DEP_1)
	v_add_f64 v[68:69], v[12:13], v[68:69]
	v_add_f64 v[68:69], v[8:9], v[68:69]
	s_delay_alu instid0(VALU_DEP_1)
	v_add_f64 v[68:69], v[4:5], v[68:69]
	ds_store_2addr_b64 v0, v[84:85], v[88:89] offset0:4 offset1:5
	ds_store_2addr_b64 v0, v[90:91], v[125:126] offset0:6 offset1:7
	;; [unrolled: 1-line block ×6, first 2 shown]
	ds_store_b64 v0, v[100:101] offset:128
	ds_store_2addr_b64 v0, v[68:69], v[86:87] offset1:1
	ds_store_2addr_b64 v0, v[108:109], v[74:75] offset0:2 offset1:3
	s_waitcnt lgkmcnt(0)
	s_barrier
	buffer_gl0_inv
	ds_load_b64 v[112:113], v117
	ds_load_b64 v[110:111], v118
	ds_load_2addr_b64 v[76:79], v1 offset0:33 offset1:152
	ds_load_2addr_b64 v[80:83], v120 offset0:66 offset1:185
	;; [unrolled: 1-line block ×6, first 2 shown]
                                        ; implicit-def: $vgpr104_vgpr105
                                        ; implicit-def: $vgpr106_vgpr107
                                        ; implicit-def: $vgpr108_vgpr109
	s_and_saveexec_b32 s1, s0
	s_cbranch_execz .LBB0_15
; %bb.14:
	ds_load_b64 v[98:99], v117 offset:4216
	ds_load_b64 v[100:101], v117 offset:6528
	;; [unrolled: 1-line block ×5, first 2 shown]
	ds_load_b64 v[96:97], v119
	ds_load_b64 v[102:103], v117 offset:15776
.LBB0_15:
	s_or_b32 exec_lo, exec_lo, s1
	v_add_f64 v[125:126], v[46:47], v[2:3]
	v_add_f64 v[4:5], v[44:45], -v[4:5]
	v_add_f64 v[8:9], v[64:65], -v[8:9]
	;; [unrolled: 1-line block ×4, first 2 shown]
	v_add_f64 v[46:47], v[6:7], v[46:47]
	v_add_f64 v[56:57], v[10:11], v[66:67]
	;; [unrolled: 1-line block ×3, first 2 shown]
	v_add_f64 v[20:21], v[48:49], -v[20:21]
	v_add_f64 v[48:49], v[30:31], v[54:55]
	v_add_f64 v[36:37], v[40:41], -v[36:37]
	v_add_f64 v[24:25], v[32:33], -v[24:25]
	;; [unrolled: 1-line block ×3, first 2 shown]
	v_add_f64 v[52:53], v[38:39], v[42:43]
	v_add_f64 v[64:65], v[26:27], v[34:35]
	s_waitcnt lgkmcnt(0)
	s_barrier
	buffer_gl0_inv
	v_add_f64 v[125:126], v[66:67], v[125:126]
	v_mul_f64 v[40:41], v[4:5], s[50:51]
	v_mul_f64 v[66:67], v[4:5], s[26:27]
	;; [unrolled: 1-line block ×32, first 2 shown]
	v_add_f64 v[125:126], v[62:63], v[125:126]
	v_mul_f64 v[62:63], v[4:5], s[44:45]
	v_fma_f64 v[175:176], v[46:47], s[22:23], v[40:41]
	v_fma_f64 v[179:180], v[46:47], s[10:11], -v[66:67]
	v_fma_f64 v[183:184], v[46:47], s[18:19], -v[32:33]
	;; [unrolled: 1-line block ×3, first 2 shown]
	v_fma_f64 v[127:128], v[46:47], s[20:21], v[127:128]
	v_fma_f64 v[32:33], v[46:47], s[18:19], v[32:33]
	;; [unrolled: 1-line block ×3, first 2 shown]
	v_fma_f64 v[40:41], v[46:47], s[22:23], -v[40:41]
	v_fma_f64 v[197:198], v[56:57], s[22:23], -v[129:130]
	v_fma_f64 v[129:130], v[56:57], s[22:23], v[129:130]
	v_fma_f64 v[199:200], v[56:57], s[4:5], -v[131:132]
	v_fma_f64 v[131:132], v[56:57], s[4:5], v[131:132]
	;; [unrolled: 2-line block ×14, first 2 shown]
	v_add_f64 v[125:126], v[58:59], v[125:126]
	v_fma_f64 v[177:178], v[46:47], s[4:5], -v[62:63]
	v_fma_f64 v[62:63], v[46:47], s[4:5], v[62:63]
	v_add_f64 v[58:59], v[18:19], v[58:59]
	v_add_f64 v[127:128], v[2:3], v[127:128]
	;; [unrolled: 1-line block ×11, first 2 shown]
	v_fma_f64 v[199:200], v[58:59], s[22:23], -v[16:17]
	v_fma_f64 v[16:17], v[58:59], s[22:23], v[16:17]
	v_mul_f64 v[137:138], v[28:29], s[40:41]
	v_mul_f64 v[139:140], v[36:37], s[38:39]
	v_add_f64 v[44:45], v[54:55], v[125:126]
	v_mul_f64 v[54:55], v[4:5], s[46:47]
	v_mul_f64 v[125:126], v[4:5], s[34:35]
	;; [unrolled: 1-line block ×3, first 2 shown]
	v_add_f64 v[62:63], v[135:136], v[62:63]
	v_add_f64 v[40:41], v[217:218], v[40:41]
	v_add_f64 v[42:43], v[42:43], v[44:45]
	v_mul_f64 v[44:45], v[8:9], s[52:53]
	v_mul_f64 v[8:9], v[8:9], s[42:43]
	v_fma_f64 v[173:174], v[46:47], s[24:25], -v[54:55]
	v_fma_f64 v[54:55], v[46:47], s[24:25], v[54:55]
	v_fma_f64 v[181:182], v[46:47], s[14:15], -v[125:126]
	v_fma_f64 v[125:126], v[46:47], s[14:15], v[125:126]
	v_fma_f64 v[187:188], v[46:47], s[16:17], v[4:5]
	v_fma_f64 v[4:5], v[46:47], s[16:17], -v[4:5]
	v_mul_f64 v[46:47], v[20:21], s[54:55]
	v_add_f64 v[62:63], v[147:148], v[62:63]
	v_fma_f64 v[147:148], v[50:51], s[10:11], -v[169:170]
	v_add_f64 v[34:35], v[34:35], v[42:43]
	v_fma_f64 v[207:208], v[56:57], s[10:11], -v[44:45]
	v_fma_f64 v[44:45], v[56:57], s[10:11], v[44:45]
	v_fma_f64 v[211:212], v[56:57], s[24:25], -v[8:9]
	v_fma_f64 v[8:9], v[56:57], s[24:25], v[8:9]
	v_add_f64 v[56:57], v[2:3], v[173:174]
	v_add_f64 v[54:55], v[2:3], v[54:55]
	;; [unrolled: 1-line block ×11, first 2 shown]
	v_mul_f64 v[42:43], v[20:21], s[36:37]
	v_mul_f64 v[20:21], v[20:21], s[34:35]
	;; [unrolled: 1-line block ×3, first 2 shown]
	v_add_f64 v[4:5], v[26:27], v[34:35]
	v_mul_f64 v[26:27], v[28:29], s[34:35]
	v_mul_f64 v[34:35], v[28:29], s[52:53]
	v_add_f64 v[8:9], v[8:9], v[127:128]
	v_add_f64 v[56:57], v[197:198], v[56:57]
	;; [unrolled: 1-line block ×12, first 2 shown]
	v_fma_f64 v[175:176], v[58:59], s[4:5], -v[155:156]
	v_fma_f64 v[155:156], v[58:59], s[4:5], v[155:156]
	v_fma_f64 v[177:178], v[58:59], s[20:21], -v[157:158]
	v_fma_f64 v[157:158], v[58:59], s[20:21], v[157:158]
	;; [unrolled: 2-line block ×7, first 2 shown]
	v_mul_f64 v[133:134], v[28:29], s[50:51]
	v_fma_f64 v[201:202], v[50:51], s[4:5], -v[191:192]
	v_fma_f64 v[191:192], v[50:51], s[4:5], v[191:192]
	v_fma_f64 v[203:204], v[50:51], s[24:25], -v[193:194]
	v_fma_f64 v[193:194], v[50:51], s[24:25], v[193:194]
	;; [unrolled: 2-line block ×3, first 2 shown]
	v_add_f64 v[4:5], v[38:39], v[4:5]
	v_mul_f64 v[38:39], v[28:29], s[28:29]
	v_mul_f64 v[28:29], v[28:29], s[30:31]
	v_add_f64 v[8:9], v[12:13], v[8:9]
	v_add_f64 v[56:57], v[215:216], v[56:57]
	;; [unrolled: 1-line block ×14, first 2 shown]
	v_fma_f64 v[149:150], v[50:51], s[10:11], v[169:170]
	v_fma_f64 v[151:152], v[50:51], s[18:19], -v[171:172]
	v_fma_f64 v[153:154], v[50:51], s[18:19], v[171:172]
	v_fma_f64 v[169:170], v[50:51], s[22:23], -v[42:43]
	;; [unrolled: 2-line block ×4, first 2 shown]
	v_fma_f64 v[189:190], v[50:51], s[20:21], v[189:190]
	v_add_f64 v[40:41], v[177:178], v[40:41]
	v_mul_f64 v[127:128], v[36:37], s[44:45]
	v_mul_f64 v[141:142], v[36:37], s[48:49]
	;; [unrolled: 1-line block ×4, first 2 shown]
	v_fma_f64 v[177:178], v[48:49], s[22:23], -v[133:134]
	v_fma_f64 v[133:134], v[48:49], s[22:23], v[133:134]
	v_add_f64 v[4:5], v[30:31], v[4:5]
	v_mul_f64 v[30:31], v[36:37], s[30:31]
	v_add_f64 v[8:9], v[16:17], v[8:9]
	v_add_f64 v[50:51], v[175:176], v[56:57]
	;; [unrolled: 1-line block ×15, first 2 shown]
	v_fma_f64 v[157:158], v[48:49], s[14:15], -v[26:27]
	v_fma_f64 v[26:27], v[48:49], s[14:15], v[26:27]
	v_fma_f64 v[159:160], v[48:49], s[10:11], -v[34:35]
	v_fma_f64 v[34:35], v[48:49], s[10:11], v[34:35]
	v_fma_f64 v[161:162], v[48:49], s[24:25], -v[187:188]
	v_fma_f64 v[163:164], v[48:49], s[24:25], v[187:188]
	v_fma_f64 v[165:166], v[48:49], s[18:19], -v[213:214]
	v_fma_f64 v[167:168], v[48:49], s[18:19], v[213:214]
	v_fma_f64 v[175:176], v[48:49], s[4:5], -v[38:39]
	v_fma_f64 v[38:39], v[48:49], s[4:5], v[38:39]
	v_fma_f64 v[179:180], v[48:49], s[20:21], -v[137:138]
	v_fma_f64 v[137:138], v[48:49], s[20:21], v[137:138]
	v_fma_f64 v[181:182], v[48:49], s[16:17], -v[28:29]
	v_fma_f64 v[28:29], v[48:49], s[16:17], v[28:29]
	v_mul_f64 v[66:67], v[24:25], s[40:41]
	v_mul_f64 v[135:136], v[24:25], s[42:43]
	v_mul_f64 v[155:156], v[24:25], s[38:39]
	v_add_f64 v[4:5], v[22:23], v[4:5]
	v_mul_f64 v[22:23], v[36:37], s[36:37]
	v_mul_f64 v[36:37], v[36:37], s[26:27]
	v_add_f64 v[8:9], v[20:21], v[8:9]
	v_add_f64 v[48:49], v[147:148], v[50:51]
	;; [unrolled: 1-line block ×16, first 2 shown]
	v_mul_f64 v[40:41], v[24:25], s[34:35]
	v_fma_f64 v[131:132], v[52:53], s[18:19], -v[139:140]
	v_fma_f64 v[139:140], v[52:53], s[18:19], v[139:140]
	v_fma_f64 v[147:148], v[52:53], s[16:17], -v[30:31]
	v_fma_f64 v[30:31], v[52:53], s[16:17], v[30:31]
	v_fma_f64 v[149:150], v[52:53], s[4:5], -v[127:128]
	v_fma_f64 v[127:128], v[52:53], s[4:5], v[127:128]
	v_fma_f64 v[151:152], v[52:53], s[14:15], -v[141:142]
	v_fma_f64 v[141:142], v[52:53], s[14:15], v[141:142]
	v_fma_f64 v[153:154], v[52:53], s[24:25], -v[143:144]
	v_fma_f64 v[143:144], v[52:53], s[24:25], v[143:144]
	v_fma_f64 v[169:170], v[52:53], s[20:21], -v[145:146]
	v_fma_f64 v[145:146], v[52:53], s[20:21], v[145:146]
	v_mul_f64 v[42:43], v[24:25], s[30:31]
	v_mul_f64 v[129:130], v[24:25], s[26:27]
	v_add_f64 v[4:5], v[18:19], v[4:5]
	v_mul_f64 v[18:19], v[24:25], s[36:37]
	v_fma_f64 v[171:172], v[52:53], s[22:23], -v[22:23]
	v_fma_f64 v[22:23], v[52:53], s[22:23], v[22:23]
	v_fma_f64 v[173:174], v[52:53], s[10:11], -v[36:37]
	v_fma_f64 v[36:37], v[52:53], s[10:11], v[36:37]
	v_add_f64 v[48:49], v[157:158], v[48:49]
	v_add_f64 v[26:27], v[26:27], v[50:51]
	;; [unrolled: 1-line block ×8, first 2 shown]
	v_mul_f64 v[24:25], v[24:25], s[28:29]
	v_add_f64 v[58:59], v[181:182], v[125:126]
	v_add_f64 v[8:9], v[28:29], v[8:9]
	;; [unrolled: 1-line block ×8, first 2 shown]
	v_fma_f64 v[32:33], v[64:65], s[20:21], v[66:67]
	v_fma_f64 v[133:134], v[64:65], s[14:15], -v[40:41]
	v_fma_f64 v[38:39], v[64:65], s[24:25], -v[135:136]
	v_fma_f64 v[60:61], v[64:65], s[24:25], v[135:136]
	v_fma_f64 v[62:63], v[64:65], s[18:19], -v[155:156]
	v_fma_f64 v[40:41], v[64:65], s[14:15], v[40:41]
	;; [unrolled: 2-line block ×4, first 2 shown]
	v_add_f64 v[4:5], v[14:15], v[4:5]
	v_fma_f64 v[14:15], v[64:65], s[20:21], -v[66:67]
	v_fma_f64 v[125:126], v[64:65], s[22:23], -v[18:19]
	v_fma_f64 v[66:67], v[64:65], s[18:19], v[155:156]
	v_fma_f64 v[18:19], v[64:65], s[22:23], v[18:19]
	v_add_f64 v[48:49], v[131:132], v[48:49]
	v_add_f64 v[26:27], v[139:140], v[26:27]
	;; [unrolled: 1-line block ×8, first 2 shown]
	v_fma_f64 v[155:156], v[64:65], s[4:5], -v[24:25]
	v_fma_f64 v[24:25], v[64:65], s[4:5], v[24:25]
	v_add_f64 v[56:57], v[173:174], v[58:59]
	v_add_f64 v[8:9], v[36:37], v[8:9]
	;; [unrolled: 1-line block ×25, first 2 shown]
                                        ; implicit-def: $vgpr38_vgpr39
                                        ; implicit-def: $vgpr40_vgpr41
	v_add_f64 v[4:5], v[6:7], v[4:5]
	ds_store_2addr_b64 v0, v[14:15], v[26:27] offset0:4 offset1:5
	ds_store_2addr_b64 v0, v[34:35], v[42:43] offset0:6 offset1:7
	;; [unrolled: 1-line block ×6, first 2 shown]
	ds_store_b64 v0, v[28:29] offset:128
	ds_store_2addr_b64 v0, v[20:21], v[2:3] offset0:2 offset1:3
	ds_store_2addr_b64 v0, v[4:5], v[10:11] offset1:1
	s_waitcnt lgkmcnt(0)
	s_barrier
	buffer_gl0_inv
	ds_load_2addr_b64 v[16:19], v1 offset0:33 offset1:152
	ds_load_2addr_b64 v[20:23], v120 offset0:66 offset1:185
	;; [unrolled: 1-line block ×6, first 2 shown]
	ds_load_b64 v[26:27], v117
	ds_load_b64 v[24:25], v118
                                        ; implicit-def: $vgpr34_vgpr35
                                        ; implicit-def: $vgpr36_vgpr37
	s_and_saveexec_b32 s1, s0
	s_cbranch_execz .LBB0_17
; %bb.16:
	ds_load_b64 v[32:33], v117 offset:4216
	ds_load_b64 v[28:29], v117 offset:6528
	;; [unrolled: 1-line block ×5, first 2 shown]
	ds_load_b64 v[30:31], v119
	ds_load_b64 v[34:35], v117 offset:15776
.LBB0_17:
	s_or_b32 exec_lo, exec_lo, s1
	v_and_b32_e32 v42, 0xff, v114
	v_and_b32_e32 v43, 0xff, v116
	s_mov_b32 s16, 0x37e14327
	s_mov_b32 s10, 0x36b3c0b5
	;; [unrolled: 1-line block ×3, first 2 shown]
	v_mul_lo_u16 v42, 0xf1, v42
	s_mov_b32 s17, 0x3fe948f6
	s_mov_b32 s11, 0x3fac98ee
	;; [unrolled: 1-line block ×4, first 2 shown]
	v_lshrrev_b16 v192, 12, v42
	v_mul_lo_u16 v42, 0xf1, v43
	s_mov_b32 s5, 0xbfebfeb5
	s_mov_b32 s20, 0xaaaaaaaa
	;; [unrolled: 1-line block ×3, first 2 shown]
	v_mul_lo_u16 v43, v192, 17
	v_lshrrev_b16 v193, 12, v42
	s_mov_b32 s26, 0xb247c609
	s_mov_b32 s21, 0xbff2aaaa
	s_mov_b32 s15, 0x3fe77f67
	v_sub_nc_u16 v42, v114, v43
	v_mul_lo_u16 v43, v193, 17
	s_mov_b32 s23, 0xbfe77f67
	s_mov_b32 s27, 0xbfd5d0dc
	s_mov_b32 s22, s14
	v_and_b32_e32 v194, 0xff, v42
	v_sub_nc_u16 v42, v116, v43
	s_mov_b32 s25, 0x3fd5d0dc
	s_mov_b32 s24, s26
	;; [unrolled: 1-line block ×3, first 2 shown]
	v_mul_u32_u24_e32 v43, 6, v194
	v_and_b32_e32 v195, 0xff, v42
	s_mov_b32 s29, 0xbfdc38aa
	s_delay_alu instid0(VALU_DEP_2) | instskip(NEXT) | instid1(VALU_DEP_2)
	v_lshlrev_b32_e32 v42, 4, v43
	v_mul_u32_u24_e32 v43, 6, v195
	s_clause 0x1
	global_load_b128 v[58:61], v42, s[8:9] offset:16
	global_load_b128 v[62:65], v42, s[8:9]
	v_lshlrev_b32_e32 v43, 4, v43
	s_clause 0x9
	global_load_b128 v[120:123], v42, s[8:9] offset:80
	global_load_b128 v[124:127], v42, s[8:9] offset:64
	global_load_b128 v[128:131], v43, s[8:9]
	global_load_b128 v[132:135], v43, s[8:9] offset:16
	global_load_b128 v[136:139], v43, s[8:9] offset:80
	global_load_b128 v[140:143], v43, s[8:9] offset:64
	global_load_b128 v[144:147], v42, s[8:9] offset:32
	global_load_b128 v[148:151], v42, s[8:9] offset:48
	global_load_b128 v[152:155], v43, s[8:9] offset:32
	global_load_b128 v[156:159], v43, s[8:9] offset:48
	v_and_b32_e32 v42, 0xffff, v115
	s_delay_alu instid0(VALU_DEP_1) | instskip(NEXT) | instid1(VALU_DEP_1)
	v_mul_u32_u24_e32 v42, 0xf0f1, v42
	v_lshrrev_b32_e32 v197, 20, v42
	s_delay_alu instid0(VALU_DEP_1) | instskip(NEXT) | instid1(VALU_DEP_1)
	v_mul_lo_u16 v42, v197, 17
	v_sub_nc_u16 v42, v115, v42
	s_delay_alu instid0(VALU_DEP_1) | instskip(NEXT) | instid1(VALU_DEP_1)
	v_and_b32_e32 v198, 0xffff, v42
	v_mul_u32_u24_e32 v42, 6, v198
	s_delay_alu instid0(VALU_DEP_1)
	v_lshlrev_b32_e32 v42, 4, v42
	s_clause 0x5
	global_load_b128 v[160:163], v42, s[8:9]
	global_load_b128 v[164:167], v42, s[8:9] offset:16
	global_load_b128 v[168:171], v42, s[8:9] offset:32
	;; [unrolled: 1-line block ×5, first 2 shown]
	s_waitcnt vmcnt(0) lgkmcnt(0)
	s_barrier
	buffer_gl0_inv
	v_mul_f64 v[46:47], v[4:5], v[122:123]
	v_mul_f64 v[50:51], v[8:9], v[126:127]
	;; [unrolled: 1-line block ×22, first 2 shown]
	v_fma_f64 v[46:47], v[88:89], v[120:121], v[46:47]
	v_fma_f64 v[52:53], v[84:85], v[124:125], v[50:51]
	;; [unrolled: 1-line block ×4, first 2 shown]
	v_mul_f64 v[76:77], v[86:87], v[142:143]
	v_fma_f64 v[44:45], v[78:79], v[128:129], v[54:55]
	v_fma_f64 v[54:55], v[82:83], v[132:133], v[56:57]
	v_fma_f64 v[50:51], v[90:91], v[136:137], v[66:67]
	v_fma_f64 v[56:57], v[86:87], v[140:141], v[115:116]
	v_mul_f64 v[80:81], v[90:91], v[138:139]
	v_fma_f64 v[62:63], v[16:17], v[62:63], -v[64:65]
	v_fma_f64 v[60:61], v[20:21], v[58:59], -v[60:61]
	v_fma_f64 v[16:17], v[72:73], v[144:145], v[184:185]
	v_fma_f64 v[20:21], v[12:13], v[144:145], -v[146:147]
	v_fma_f64 v[12:13], v[68:69], v[148:149], v[186:187]
	v_fma_f64 v[58:59], v[0:1], v[148:149], -v[150:151]
	v_fma_f64 v[64:65], v[8:9], v[124:125], -v[126:127]
	;; [unrolled: 1-line block ×4, first 2 shown]
	v_fma_f64 v[0:1], v[74:75], v[152:153], v[188:189]
	v_fma_f64 v[4:5], v[14:15], v[152:153], -v[154:155]
	v_fma_f64 v[2:3], v[2:3], v[156:157], -v[158:159]
	;; [unrolled: 1-line block ×3, first 2 shown]
	v_mul_f64 v[138:139], v[106:107], v[174:175]
	v_mul_f64 v[142:143], v[104:105], v[178:179]
	;; [unrolled: 1-line block ×3, first 2 shown]
	v_add_f64 v[68:69], v[48:49], v[52:53]
	v_add_f64 v[22:23], v[42:43], v[46:47]
	v_fma_f64 v[14:15], v[10:11], v[140:141], -v[76:77]
	v_fma_f64 v[10:11], v[70:71], v[156:157], v[190:191]
	v_mul_f64 v[140:141], v[36:37], v[178:179]
	v_add_f64 v[70:71], v[44:45], v[50:51]
	v_add_f64 v[72:73], v[54:55], v[56:57]
	v_fma_f64 v[6:7], v[6:7], v[136:137], -v[80:81]
	v_mul_f64 v[136:137], v[38:39], v[174:175]
	v_add_f64 v[74:75], v[16:17], v[12:13]
	v_add_f64 v[78:79], v[58:59], -v[20:21]
	v_add_f64 v[76:77], v[60:61], -v[64:65]
	;; [unrolled: 1-line block ×4, first 2 shown]
	v_fma_f64 v[38:39], v[38:39], v[172:173], -v[138:139]
	v_add_f64 v[82:83], v[68:69], v[22:23]
	v_add_f64 v[84:85], v[8:9], -v[14:15]
	v_add_f64 v[86:87], v[0:1], v[10:11]
	v_add_f64 v[115:116], v[72:73], v[70:71]
	v_add_f64 v[90:91], v[18:19], -v[6:7]
	v_add_f64 v[120:121], v[22:23], -v[74:75]
	;; [unrolled: 1-line block ×6, first 2 shown]
	v_add_f64 v[68:69], v[78:79], v[76:77]
	v_add_f64 v[76:77], v[80:81], -v[78:79]
	v_add_f64 v[74:75], v[74:75], v[82:83]
	v_add_f64 v[128:129], v[88:89], -v[84:85]
	v_add_f64 v[82:83], v[70:71], -v[86:87]
	v_add_f64 v[78:79], v[88:89], v[84:85]
	v_add_f64 v[70:71], v[72:73], -v[70:71]
	v_add_f64 v[115:116], v[86:87], v[115:116]
	v_add_f64 v[86:87], v[86:87], -v[72:73]
	v_add_f64 v[130:131], v[84:85], -v[90:91]
	;; [unrolled: 1-line block ×3, first 2 shown]
	v_mul_f64 v[84:85], v[120:121], s[16:17]
	v_mul_f64 v[120:121], v[122:123], s[10:11]
	;; [unrolled: 1-line block ×4, first 2 shown]
	v_add_f64 v[68:69], v[68:69], v[80:81]
	v_add_f64 v[112:113], v[112:113], v[74:75]
	v_mul_f64 v[128:129], v[128:129], s[18:19]
	v_mul_f64 v[82:83], v[82:83], s[16:17]
	v_add_f64 v[78:79], v[78:79], v[90:91]
	v_add_f64 v[110:111], v[110:111], v[115:116]
	v_mul_f64 v[72:73], v[86:87], s[10:11]
	v_mul_f64 v[134:135], v[130:131], s[4:5]
	v_fma_f64 v[80:81], v[122:123], s[10:11], v[84:85]
	v_fma_f64 v[90:91], v[22:23], s[14:15], -v[120:121]
	v_fma_f64 v[120:121], v[76:77], s[26:27], v[124:125]
	v_fma_f64 v[22:23], v[22:23], s[22:23], -v[84:85]
	v_fma_f64 v[122:123], v[126:127], s[4:5], -v[124:125]
	;; [unrolled: 1-line block ×3, first 2 shown]
	v_mul_f64 v[126:127], v[98:99], v[162:163]
	v_mul_f64 v[132:133], v[40:41], v[170:171]
	v_fma_f64 v[74:75], v[74:75], s[20:21], v[112:113]
	v_fma_f64 v[124:125], v[130:131], s[4:5], -v[128:129]
	v_fma_f64 v[84:85], v[86:87], s[10:11], v[82:83]
	v_fma_f64 v[82:83], v[70:71], s[22:23], -v[82:83]
	v_fma_f64 v[86:87], v[88:89], s[26:27], v[128:129]
	v_fma_f64 v[115:116], v[115:116], s[20:21], v[110:111]
	v_fma_f64 v[70:71], v[70:71], s[14:15], -v[72:73]
	v_fma_f64 v[88:89], v[88:89], s[24:25], -v[134:135]
	v_mul_f64 v[72:73], v[32:33], v[162:163]
	v_mul_f64 v[128:129], v[28:29], v[166:167]
	;; [unrolled: 1-line block ×4, first 2 shown]
	v_fma_f64 v[120:121], v[68:69], s[28:29], v[120:121]
	v_fma_f64 v[122:123], v[68:69], s[28:29], v[122:123]
	;; [unrolled: 1-line block ×3, first 2 shown]
	v_add_f64 v[148:149], v[80:81], v[74:75]
	v_add_f64 v[22:23], v[22:23], v[74:75]
	;; [unrolled: 1-line block ×3, first 2 shown]
	v_fma_f64 v[124:125], v[78:79], s[28:29], v[124:125]
	v_fma_f64 v[86:87], v[78:79], s[28:29], v[86:87]
	v_add_f64 v[84:85], v[84:85], v[115:116]
	v_add_f64 v[150:151], v[82:83], v[115:116]
	;; [unrolled: 1-line block ×3, first 2 shown]
	v_mul_f64 v[115:116], v[102:103], v[182:183]
	v_fma_f64 v[88:89], v[78:79], s[28:29], v[88:89]
	v_fma_f64 v[68:69], v[98:99], v[160:161], v[72:73]
	v_fma_f64 v[74:75], v[32:33], v[160:161], -v[126:127]
	v_fma_f64 v[32:33], v[100:101], v[164:165], v[128:129]
	v_fma_f64 v[76:77], v[28:29], v[164:165], -v[130:131]
	;; [unrolled: 2-line block ×3, first 2 shown]
	v_fma_f64 v[40:41], v[106:107], v[172:173], v[136:137]
	v_fma_f64 v[80:81], v[104:105], v[176:177], v[140:141]
	v_fma_f64 v[82:83], v[36:37], v[176:177], -v[142:143]
	v_fma_f64 v[36:37], v[102:103], v[180:181], v[144:145]
	v_add_f64 v[28:29], v[120:121], v[148:149]
	v_add_f64 v[98:99], v[146:147], v[22:23]
	v_add_f64 v[100:101], v[90:91], -v[122:123]
	v_add_f64 v[90:91], v[122:123], v[90:91]
	v_add_f64 v[22:23], v[22:23], -v[146:147]
	v_add_f64 v[102:103], v[148:149], -v[120:121]
	v_add_f64 v[104:105], v[86:87], v[84:85]
	v_add_f64 v[108:109], v[70:71], -v[124:125]
	v_fma_f64 v[34:35], v[34:35], v[180:181], -v[115:116]
	v_add_f64 v[106:107], v[88:89], v[150:151]
	v_add_f64 v[70:71], v[124:125], v[70:71]
	v_add_f64 v[88:89], v[150:151], -v[88:89]
	v_add_f64 v[120:121], v[84:85], -v[86:87]
	v_and_b32_e32 v84, 0xffff, v192
	v_and_b32_e32 v85, 0xffff, v193
	v_lshlrev_b32_e32 v87, 3, v194
	v_lshlrev_b32_e32 v116, 3, v195
	s_delay_alu instid0(VALU_DEP_4) | instskip(NEXT) | instid1(VALU_DEP_4)
	v_mul_u32_u24_e32 v86, 0x3b8, v84
	v_mul_u32_u24_e32 v115, 0x3b8, v85
	v_mul_lo_u16 v85, 0x77, v197
	v_lshlrev_b32_e32 v84, 3, v198
	s_delay_alu instid0(VALU_DEP_4) | instskip(NEXT) | instid1(VALU_DEP_4)
	v_add3_u32 v87, 0, v86, v87
	v_add3_u32 v86, 0, v115, v116
	ds_store_2addr_b64 v87, v[112:113], v[28:29] offset1:17
	ds_store_2addr_b64 v87, v[98:99], v[100:101] offset0:34 offset1:51
	ds_store_2addr_b64 v87, v[90:91], v[22:23] offset0:68 offset1:85
	ds_store_b64 v87, v[102:103] offset:816
	ds_store_2addr_b64 v86, v[110:111], v[104:105] offset1:17
	ds_store_2addr_b64 v86, v[106:107], v[108:109] offset0:34 offset1:51
	ds_store_2addr_b64 v86, v[70:71], v[88:89] offset0:68 offset1:85
	ds_store_b64 v86, v[120:121] offset:816
	s_and_saveexec_b32 s1, s0
	s_cbranch_execz .LBB0_19
; %bb.18:
	v_add_f64 v[22:23], v[32:33], v[80:81]
	v_add_f64 v[28:29], v[68:69], v[36:37]
	v_add_f64 v[70:71], v[38:39], -v[78:79]
	v_add_f64 v[88:89], v[76:77], -v[82:83]
	v_add_f64 v[90:91], v[72:73], v[40:41]
	v_add_f64 v[98:99], v[74:75], -v[34:35]
	v_add_f64 v[100:101], v[22:23], v[28:29]
	s_delay_alu instid0(VALU_DEP_4) | instskip(NEXT) | instid1(VALU_DEP_4)
	v_add_f64 v[102:103], v[70:71], -v[88:89]
	v_add_f64 v[104:105], v[28:29], -v[90:91]
	s_delay_alu instid0(VALU_DEP_4)
	v_add_f64 v[106:107], v[88:89], -v[98:99]
	v_add_f64 v[88:89], v[70:71], v[88:89]
	v_add_f64 v[70:71], v[98:99], -v[70:71]
	v_add_f64 v[100:101], v[90:91], v[100:101]
	v_add_f64 v[90:91], v[90:91], -v[22:23]
	v_add_f64 v[22:23], v[22:23], -v[28:29]
	v_mul_f64 v[28:29], v[102:103], s[18:19]
	v_mul_f64 v[102:103], v[104:105], s[16:17]
	;; [unrolled: 1-line block ×3, first 2 shown]
	v_add_f64 v[88:89], v[88:89], v[98:99]
	v_add_f64 v[96:97], v[96:97], v[100:101]
	v_mul_f64 v[108:109], v[90:91], s[10:11]
	v_fma_f64 v[98:99], v[70:71], s[26:27], v[28:29]
	v_fma_f64 v[90:91], v[90:91], s[10:11], v[102:103]
	v_fma_f64 v[110:111], v[22:23], s[22:23], -v[102:103]
	v_fma_f64 v[70:71], v[70:71], s[24:25], -v[104:105]
	;; [unrolled: 1-line block ×3, first 2 shown]
	v_fma_f64 v[100:101], v[100:101], s[20:21], v[96:97]
	v_fma_f64 v[22:23], v[22:23], s[14:15], -v[108:109]
	v_fma_f64 v[98:99], v[88:89], s[28:29], v[98:99]
	v_fma_f64 v[70:71], v[88:89], s[28:29], v[70:71]
	;; [unrolled: 1-line block ×3, first 2 shown]
	v_add_f64 v[90:91], v[90:91], v[100:101]
	v_add_f64 v[88:89], v[110:111], v[100:101]
	;; [unrolled: 1-line block ×3, first 2 shown]
	s_delay_alu instid0(VALU_DEP_3) | instskip(NEXT) | instid1(VALU_DEP_3)
	v_add_f64 v[104:105], v[98:99], v[90:91]
	v_add_f64 v[100:101], v[88:89], -v[70:71]
	s_delay_alu instid0(VALU_DEP_3) | instskip(SKIP_4) | instid1(VALU_DEP_1)
	v_add_f64 v[102:103], v[22:23], -v[28:29]
	v_add_f64 v[70:71], v[70:71], v[88:89]
	v_add_f64 v[22:23], v[28:29], v[22:23]
	v_add_f64 v[28:29], v[90:91], -v[98:99]
	v_and_b32_e32 v88, 0xffff, v85
	v_lshlrev_b32_e32 v88, 3, v88
	s_delay_alu instid0(VALU_DEP_1)
	v_add3_u32 v88, 0, v84, v88
	ds_store_2addr_b64 v88, v[96:97], v[104:105] offset1:17
	ds_store_2addr_b64 v88, v[70:71], v[102:103] offset0:34 offset1:51
	ds_store_2addr_b64 v88, v[22:23], v[100:101] offset0:68 offset1:85
	ds_store_b64 v88, v[28:29] offset:816
.LBB0_19:
	s_or_b32 exec_lo, exec_lo, s1
	v_add_f64 v[22:23], v[62:63], v[66:67]
	v_add_f64 v[28:29], v[60:61], v[64:65]
	;; [unrolled: 1-line block ×5, first 2 shown]
	v_add_f64 v[18:19], v[48:49], -v[52:53]
	v_add_f64 v[12:13], v[12:13], -v[16:17]
	;; [unrolled: 1-line block ×4, first 2 shown]
	v_add_f64 v[2:3], v[4:5], v[2:3]
	v_add_f64 v[0:1], v[10:11], -v[0:1]
	v_add_f64 v[4:5], v[44:45], -v[50:51]
	s_waitcnt lgkmcnt(0)
	s_barrier
	buffer_gl0_inv
	ds_load_b64 v[134:135], v117
	ds_load_b64 v[70:71], v118
	;; [unrolled: 1-line block ×3, first 2 shown]
	v_add_f64 v[20:21], v[28:29], v[22:23]
	v_add_f64 v[10:11], v[8:9], v[6:7]
	v_add_f64 v[44:45], v[22:23], -v[14:15]
	v_add_f64 v[46:47], v[14:15], -v[28:29]
	;; [unrolled: 1-line block ×5, first 2 shown]
	v_add_f64 v[18:19], v[12:13], v[18:19]
	v_add_f64 v[52:53], v[0:1], -v[42:43]
	v_add_f64 v[54:55], v[42:43], -v[4:5]
	;; [unrolled: 1-line block ×3, first 2 shown]
	v_add_f64 v[28:29], v[0:1], v[42:43]
	v_add_f64 v[0:1], v[4:5], -v[0:1]
	v_add_f64 v[14:15], v[14:15], v[20:21]
	v_add_f64 v[20:21], v[6:7], -v[2:3]
	;; [unrolled: 2-line block ×3, first 2 shown]
	v_mul_f64 v[42:43], v[44:45], s[16:17]
	v_mul_f64 v[44:45], v[46:47], s[10:11]
	;; [unrolled: 1-line block ×4, first 2 shown]
	v_add_f64 v[6:7], v[8:9], -v[6:7]
	v_add_f64 v[16:17], v[18:19], v[16:17]
	v_add_f64 v[4:5], v[28:29], v[4:5]
	;; [unrolled: 1-line block ×3, first 2 shown]
	v_mul_f64 v[20:21], v[20:21], s[16:17]
	v_mul_f64 v[26:27], v[52:53], s[18:19]
	v_add_f64 v[60:61], v[24:25], v[10:11]
	v_mul_f64 v[52:53], v[54:55], s[4:5]
	v_mul_f64 v[8:9], v[2:3], s[10:11]
	v_fma_f64 v[18:19], v[46:47], s[10:11], v[42:43]
	v_fma_f64 v[24:25], v[22:23], s[14:15], -v[44:45]
	v_fma_f64 v[28:29], v[12:13], s[26:27], v[48:49]
	v_fma_f64 v[44:45], v[50:51], s[4:5], -v[48:49]
	v_fma_f64 v[12:13], v[12:13], s[24:25], -v[56:57]
	;; [unrolled: 1-line block ×3, first 2 shown]
	v_fma_f64 v[14:15], v[14:15], s[20:21], v[58:59]
	v_fma_f64 v[2:3], v[2:3], s[10:11], v[20:21]
	v_fma_f64 v[42:43], v[0:1], s[26:27], v[26:27]
	v_fma_f64 v[10:11], v[10:11], s[20:21], v[60:61]
	v_fma_f64 v[26:27], v[54:55], s[4:5], -v[26:27]
	v_fma_f64 v[0:1], v[0:1], s[24:25], -v[52:53]
	;; [unrolled: 1-line block ×4, first 2 shown]
	v_fma_f64 v[8:9], v[16:17], s[28:29], v[28:29]
	v_fma_f64 v[28:29], v[16:17], s[28:29], v[44:45]
	;; [unrolled: 1-line block ×3, first 2 shown]
	v_add_f64 v[16:17], v[18:19], v[14:15]
	v_add_f64 v[18:19], v[22:23], v[14:15]
	;; [unrolled: 1-line block ×3, first 2 shown]
	v_fma_f64 v[22:23], v[4:5], s[28:29], v[42:43]
	v_add_f64 v[2:3], v[2:3], v[10:11]
	v_fma_f64 v[24:25], v[4:5], s[28:29], v[26:27]
	v_fma_f64 v[0:1], v[4:5], s[28:29], v[0:1]
	v_add_f64 v[4:5], v[20:21], v[10:11]
	v_add_f64 v[6:7], v[6:7], v[10:11]
	v_add_f64 v[42:43], v[16:17], -v[8:9]
	v_add_f64 v[44:45], v[18:19], -v[12:13]
	v_add_f64 v[46:47], v[28:29], v[14:15]
	v_add_f64 v[48:49], v[14:15], -v[28:29]
	v_add_f64 v[50:51], v[12:13], v[18:19]
	v_add_f64 v[52:53], v[8:9], v[16:17]
	v_add_f64 v[54:55], v[2:3], -v[22:23]
	v_add_f64 v[56:57], v[4:5], -v[0:1]
	v_add_f64 v[62:63], v[24:25], v[6:7]
	v_add_f64 v[64:65], v[6:7], -v[24:25]
	v_add_f64 v[88:89], v[0:1], v[4:5]
	v_add_f64 v[90:91], v[22:23], v[2:3]
	v_add_nc_u32_e32 v0, 0x800, v117
	v_add_nc_u32_e32 v1, 0x1000, v117
	v_add_nc_u32_e32 v2, 0x1800, v117
	v_add_nc_u32_e32 v3, 0x2000, v117
	v_add_nc_u32_e32 v4, 0x2800, v117
	v_add_nc_u32_e32 v5, 0x3000, v117
	v_add_nc_u32_e32 v28, 0x3400, v117
	ds_load_2addr_b64 v[8:11], v0 offset0:101 offset1:220
	ds_load_2addr_b64 v[16:19], v1 offset0:83 offset1:202
	;; [unrolled: 1-line block ×7, first 2 shown]
	s_waitcnt lgkmcnt(0)
	s_barrier
	buffer_gl0_inv
	ds_store_2addr_b64 v87, v[58:59], v[42:43] offset1:17
	ds_store_2addr_b64 v87, v[44:45], v[46:47] offset0:34 offset1:51
	ds_store_2addr_b64 v87, v[48:49], v[50:51] offset0:68 offset1:85
	ds_store_b64 v87, v[52:53] offset:816
	ds_store_2addr_b64 v86, v[60:61], v[54:55] offset1:17
	ds_store_2addr_b64 v86, v[56:57], v[62:63] offset0:34 offset1:51
	ds_store_2addr_b64 v86, v[64:65], v[88:89] offset0:68 offset1:85
	ds_store_b64 v86, v[90:91] offset:816
	s_and_saveexec_b32 s1, s0
	s_cbranch_execz .LBB0_21
; %bb.20:
	v_add_f64 v[34:35], v[74:75], v[34:35]
	v_add_f64 v[42:43], v[76:77], v[82:83]
	;; [unrolled: 1-line block ×3, first 2 shown]
	v_add_f64 v[32:33], v[32:33], -v[80:81]
	v_add_f64 v[40:41], v[40:41], -v[72:73]
	;; [unrolled: 1-line block ×3, first 2 shown]
	s_mov_b32 s4, 0x37e14327
	s_mov_b32 s5, 0x3fe948f6
	;; [unrolled: 1-line block ×8, first 2 shown]
	v_and_b32_e32 v28, 0xffff, v85
	s_delay_alu instid0(VALU_DEP_1) | instskip(NEXT) | instid1(VALU_DEP_1)
	v_lshlrev_b32_e32 v28, 3, v28
	v_add3_u32 v28, 0, v84, v28
	v_add_f64 v[44:45], v[42:43], v[34:35]
	v_add_f64 v[46:47], v[34:35], -v[38:39]
	v_add_f64 v[48:49], v[38:39], -v[42:43]
	v_add_f64 v[50:51], v[40:41], -v[32:33]
	v_add_f64 v[52:53], v[32:33], -v[36:37]
	v_add_f64 v[34:35], v[42:43], -v[34:35]
	v_add_f64 v[32:33], v[40:41], v[32:33]
	v_add_f64 v[40:41], v[36:37], -v[40:41]
	v_add_f64 v[38:39], v[38:39], v[44:45]
	v_mul_f64 v[42:43], v[46:47], s[4:5]
	s_mov_b32 s4, 0x429ad128
	v_mul_f64 v[44:45], v[48:49], s[10:11]
	v_mul_f64 v[46:47], v[50:51], s[14:15]
	s_mov_b32 s5, 0xbfebfeb5
	s_mov_b32 s14, 0xaaaaaaaa
	v_mul_f64 v[50:51], v[52:53], s[4:5]
	s_mov_b32 s15, 0xbff2aaaa
	v_add_f64 v[32:33], v[32:33], v[36:37]
	v_add_f64 v[30:31], v[30:31], v[38:39]
	v_fma_f64 v[36:37], v[48:49], s[10:11], v[42:43]
	v_fma_f64 v[44:45], v[34:35], s[16:17], -v[44:45]
	s_mov_b32 s17, 0xbfe77f67
	v_fma_f64 v[48:49], v[40:41], s[18:19], v[46:47]
	s_mov_b32 s19, 0x3fd5d0dc
	v_fma_f64 v[46:47], v[52:53], s[4:5], -v[46:47]
	v_fma_f64 v[40:41], v[40:41], s[18:19], -v[50:51]
	;; [unrolled: 1-line block ×3, first 2 shown]
	s_mov_b32 s4, 0x37c3f68c
	s_mov_b32 s5, 0xbfdc38aa
	v_fma_f64 v[38:39], v[38:39], s[14:15], v[30:31]
	v_fma_f64 v[42:43], v[32:33], s[4:5], v[48:49]
	;; [unrolled: 1-line block ×4, first 2 shown]
	s_delay_alu instid0(VALU_DEP_4) | instskip(SKIP_2) | instid1(VALU_DEP_3)
	v_add_f64 v[36:37], v[36:37], v[38:39]
	v_add_f64 v[34:35], v[34:35], v[38:39]
	;; [unrolled: 1-line block ×3, first 2 shown]
	v_add_f64 v[40:41], v[36:37], -v[42:43]
	s_delay_alu instid0(VALU_DEP_3) | instskip(NEXT) | instid1(VALU_DEP_3)
	v_add_f64 v[44:45], v[34:35], -v[32:33]
	v_add_f64 v[48:49], v[46:47], v[38:39]
	v_add_f64 v[38:39], v[38:39], -v[46:47]
	v_add_f64 v[32:33], v[32:33], v[34:35]
	v_add_f64 v[34:35], v[42:43], v[36:37]
	ds_store_2addr_b64 v28, v[30:31], v[40:41] offset1:17
	ds_store_2addr_b64 v28, v[44:45], v[48:49] offset0:34 offset1:51
	ds_store_2addr_b64 v28, v[38:39], v[32:33] offset0:68 offset1:85
	ds_store_b64 v28, v[34:35] offset:816
.LBB0_21:
	s_or_b32 exec_lo, exec_lo, s1
	s_waitcnt lgkmcnt(0)
	s_barrier
	buffer_gl0_inv
	s_and_saveexec_b32 s0, vcc_lo
	s_cbranch_execz .LBB0_23
; %bb.22:
	v_dual_mov_b32 v31, 0 :: v_dual_lshlrev_b32 v30, 4, v114
	v_add_nc_u32_e32 v28, 0x1800, v117
	s_mov_b32 s24, 0x5d8e7cdc
	s_mov_b32 s25, 0x3fd71e95
	;; [unrolled: 1-line block ×3, first 2 shown]
	v_lshlrev_b64 v[30:31], 4, v[30:31]
	s_mov_b32 s36, s24
	s_mov_b32 s18, 0x2a9d6da3
	;; [unrolled: 1-line block ×5, first 2 shown]
	v_add_co_u32 v68, vcc_lo, s8, v30
	v_add_co_ci_u32_e32 v69, vcc_lo, s9, v31, vcc_lo
	s_mov_b32 s41, 0xbfe58eea
	s_mov_b32 s40, s18
	s_clause 0x1
	global_load_b128 v[32:35], v[68:69], off offset:1744
	global_load_b128 v[36:39], v[68:69], off offset:1728
	ds_load_2addr_b64 v[40:43], v28 offset0:65 offset1:184
	v_add_nc_u32_e32 v28, 0x2000, v117
	s_mov_b32 s4, 0x75d4884
	s_mov_b32 s5, 0x3fe7a5f6
	;; [unrolled: 1-line block ×32, first 2 shown]
	v_add_nc_u32_e32 v255, 0x341, v196
	s_waitcnt vmcnt(1)
	v_mul_f64 v[30:31], v[26:27], v[32:33]
	v_mul_f64 v[26:27], v[26:27], v[34:35]
	s_waitcnt lgkmcnt(0)
	s_delay_alu instid0(VALU_DEP_2) | instskip(NEXT) | instid1(VALU_DEP_2)
	v_fma_f64 v[30:31], v[42:43], v[34:35], v[30:31]
	v_fma_f64 v[26:27], v[42:43], v[32:33], -v[26:27]
	s_waitcnt vmcnt(0)
	v_mul_f64 v[32:33], v[24:25], v[36:37]
	v_mul_f64 v[24:25], v[24:25], v[38:39]
	s_delay_alu instid0(VALU_DEP_2) | instskip(NEXT) | instid1(VALU_DEP_2)
	v_fma_f64 v[32:33], v[40:41], v[38:39], v[32:33]
	v_fma_f64 v[24:25], v[40:41], v[36:37], -v[24:25]
	s_clause 0x1
	global_load_b128 v[36:39], v[68:69], off offset:1760
	global_load_b128 v[40:43], v[68:69], off offset:1776
	ds_load_2addr_b64 v[44:47], v28 offset0:47 offset1:166
	v_add_nc_u32_e32 v28, 0x1000, v117
	s_waitcnt vmcnt(1)
	v_mul_f64 v[34:35], v[20:21], v[36:37]
	v_mul_f64 v[20:21], v[20:21], v[38:39]
	s_waitcnt lgkmcnt(0)
	s_delay_alu instid0(VALU_DEP_2) | instskip(NEXT) | instid1(VALU_DEP_2)
	v_fma_f64 v[34:35], v[44:45], v[38:39], v[34:35]
	v_fma_f64 v[20:21], v[44:45], v[36:37], -v[20:21]
	s_waitcnt vmcnt(0)
	v_mul_f64 v[36:37], v[22:23], v[40:41]
	v_mul_f64 v[22:23], v[22:23], v[42:43]
	s_delay_alu instid0(VALU_DEP_4) | instskip(NEXT) | instid1(VALU_DEP_4)
	v_add_f64 v[136:137], v[30:31], -v[34:35]
	v_add_f64 v[138:139], v[26:27], -v[20:21]
	s_delay_alu instid0(VALU_DEP_4) | instskip(NEXT) | instid1(VALU_DEP_4)
	v_fma_f64 v[36:37], v[46:47], v[42:43], v[36:37]
	v_fma_f64 v[22:23], v[46:47], v[40:41], -v[22:23]
	s_clause 0x1
	global_load_b128 v[40:43], v[68:69], off offset:1712
	global_load_b128 v[44:47], v[68:69], off offset:1696
	ds_load_2addr_b64 v[48:51], v28 offset0:83 offset1:202
	v_add_nc_u32_e32 v28, 0x2800, v117
	v_mul_f64 v[233:234], v[136:137], s[28:29]
	v_mul_f64 v[235:236], v[138:139], s[28:29]
	v_add_f64 v[140:141], v[32:33], -v[36:37]
	v_add_f64 v[142:143], v[24:25], -v[22:23]
	v_mul_f64 v[132:133], v[136:137], s[26:27]
	s_delay_alu instid0(VALU_DEP_3) | instskip(NEXT) | instid1(VALU_DEP_3)
	v_mul_f64 v[128:129], v[140:141], s[18:19]
	v_mul_f64 v[130:131], v[142:143], s[18:19]
	s_waitcnt vmcnt(1)
	v_mul_f64 v[38:39], v[18:19], v[40:41]
	v_mul_f64 v[18:19], v[18:19], v[42:43]
	s_waitcnt lgkmcnt(0)
	s_delay_alu instid0(VALU_DEP_2) | instskip(NEXT) | instid1(VALU_DEP_2)
	v_fma_f64 v[38:39], v[50:51], v[42:43], v[38:39]
	v_fma_f64 v[18:19], v[50:51], v[40:41], -v[18:19]
	s_waitcnt vmcnt(0)
	v_mul_f64 v[40:41], v[16:17], v[44:45]
	v_mul_f64 v[16:17], v[16:17], v[46:47]
	s_delay_alu instid0(VALU_DEP_2) | instskip(NEXT) | instid1(VALU_DEP_2)
	v_fma_f64 v[40:41], v[48:49], v[46:47], v[40:41]
	v_fma_f64 v[16:17], v[48:49], v[44:45], -v[16:17]
	s_clause 0x1
	global_load_b128 v[44:47], v[68:69], off offset:1792
	global_load_b128 v[48:51], v[68:69], off offset:1808
	ds_load_2addr_b64 v[52:55], v28 offset0:29 offset1:148
	v_add_nc_u32_e32 v28, 0x800, v117
	s_waitcnt vmcnt(1)
	v_mul_f64 v[42:43], v[12:13], v[44:45]
	v_mul_f64 v[12:13], v[12:13], v[46:47]
	s_waitcnt lgkmcnt(0)
	s_delay_alu instid0(VALU_DEP_2) | instskip(NEXT) | instid1(VALU_DEP_2)
	v_fma_f64 v[42:43], v[52:53], v[46:47], v[42:43]
	v_fma_f64 v[12:13], v[52:53], v[44:45], -v[12:13]
	s_waitcnt vmcnt(0)
	v_mul_f64 v[44:45], v[14:15], v[48:49]
	v_mul_f64 v[14:15], v[14:15], v[50:51]
	s_delay_alu instid0(VALU_DEP_4) | instskip(NEXT) | instid1(VALU_DEP_4)
	v_add_f64 v[144:145], v[38:39], -v[42:43]
	v_add_f64 v[146:147], v[18:19], -v[12:13]
	s_delay_alu instid0(VALU_DEP_4) | instskip(NEXT) | instid1(VALU_DEP_4)
	v_fma_f64 v[44:45], v[54:55], v[50:51], v[44:45]
	v_fma_f64 v[14:15], v[54:55], v[48:49], -v[14:15]
	s_clause 0x1
	global_load_b128 v[48:51], v[68:69], off offset:1680
	global_load_b128 v[54:57], v[68:69], off offset:1664
	ds_load_2addr_b64 v[58:61], v28 offset0:101 offset1:220
	v_add_nc_u32_e32 v28, 0x3000, v117
	v_mul_f64 v[124:125], v[144:145], s[34:35]
	v_mul_f64 v[126:127], v[146:147], s[34:35]
	v_add_f64 v[148:149], v[40:41], -v[44:45]
	v_add_f64 v[150:151], v[16:17], -v[14:15]
	s_delay_alu instid0(VALU_DEP_2) | instskip(SKIP_1) | instid1(VALU_DEP_3)
	v_mul_f64 v[88:89], v[148:149], s[46:47]
	v_mul_f64 v[120:121], v[148:149], s[36:37]
	;; [unrolled: 1-line block ×3, first 2 shown]
	s_waitcnt vmcnt(1)
	v_mul_f64 v[46:47], v[10:11], v[48:49]
	v_mul_f64 v[10:11], v[10:11], v[50:51]
	s_waitcnt lgkmcnt(0)
	s_delay_alu instid0(VALU_DEP_2) | instskip(NEXT) | instid1(VALU_DEP_2)
	v_fma_f64 v[46:47], v[60:61], v[50:51], v[46:47]
	v_fma_f64 v[48:49], v[60:61], v[48:49], -v[10:11]
	s_waitcnt vmcnt(0)
	v_mul_f64 v[10:11], v[8:9], v[54:55]
	v_mul_f64 v[8:9], v[8:9], v[56:57]
	s_delay_alu instid0(VALU_DEP_2) | instskip(NEXT) | instid1(VALU_DEP_2)
	v_fma_f64 v[52:53], v[58:59], v[56:57], v[10:11]
	v_fma_f64 v[50:51], v[58:59], v[54:55], -v[8:9]
	s_clause 0x1
	global_load_b128 v[8:11], v[68:69], off offset:1824
	global_load_b128 v[58:61], v[68:69], off offset:1840
	ds_load_2addr_b64 v[62:65], v28 offset0:11 offset1:130
	v_add_nc_u32_e32 v28, 0x3400, v117
	s_waitcnt vmcnt(1)
	v_mul_f64 v[54:55], v[4:5], v[8:9]
	v_mul_f64 v[4:5], v[4:5], v[10:11]
	s_waitcnt lgkmcnt(0)
	s_delay_alu instid0(VALU_DEP_2) | instskip(NEXT) | instid1(VALU_DEP_2)
	v_fma_f64 v[54:55], v[62:63], v[10:11], v[54:55]
	v_fma_f64 v[56:57], v[62:63], v[8:9], -v[4:5]
	s_waitcnt vmcnt(0)
	v_mul_f64 v[4:5], v[6:7], v[58:59]
	v_mul_f64 v[6:7], v[6:7], v[60:61]
	s_delay_alu instid0(VALU_DEP_4) | instskip(NEXT) | instid1(VALU_DEP_4)
	v_add_f64 v[152:153], v[46:47], -v[54:55]
	v_add_f64 v[154:155], v[48:49], -v[56:57]
	s_delay_alu instid0(VALU_DEP_4) | instskip(NEXT) | instid1(VALU_DEP_4)
	v_fma_f64 v[60:61], v[64:65], v[60:61], v[4:5]
	v_fma_f64 v[58:59], v[64:65], v[58:59], -v[6:7]
	s_clause 0x1
	global_load_b128 v[4:7], v[68:69], off offset:1856
	global_load_b128 v[8:11], v[68:69], off offset:1872
	ds_load_2addr_b64 v[72:75], v28 offset0:121 offset1:240
	v_mul_f64 v[90:91], v[152:153], s[34:35]
	v_add_f64 v[156:157], v[52:53], -v[60:61]
	v_add_f64 v[158:159], v[50:51], -v[58:59]
	s_delay_alu instid0(VALU_DEP_2) | instskip(SKIP_1) | instid1(VALU_DEP_3)
	v_mul_f64 v[84:85], v[156:157], s[28:29]
	v_mul_f64 v[100:101], v[156:157], s[38:39]
	v_mul_f64 v[102:103], v[158:159], s[38:39]
	s_waitcnt vmcnt(1)
	v_mul_f64 v[62:63], v[0:1], v[4:5]
	v_mul_f64 v[0:1], v[0:1], v[6:7]
	s_waitcnt lgkmcnt(0)
	s_delay_alu instid0(VALU_DEP_2) | instskip(NEXT) | instid1(VALU_DEP_2)
	v_fma_f64 v[62:63], v[72:73], v[6:7], v[62:63]
	v_fma_f64 v[0:1], v[72:73], v[4:5], -v[0:1]
	s_waitcnt vmcnt(0)
	v_mul_f64 v[4:5], v[2:3], v[8:9]
	v_mul_f64 v[2:3], v[2:3], v[10:11]
	s_delay_alu instid0(VALU_DEP_2) | instskip(NEXT) | instid1(VALU_DEP_2)
	v_fma_f64 v[64:65], v[74:75], v[10:11], v[4:5]
	v_fma_f64 v[2:3], v[74:75], v[8:9], -v[2:3]
	s_clause 0x1
	global_load_b128 v[4:7], v[68:69], off offset:1648
	global_load_b128 v[8:11], v[68:69], off offset:1632
	ds_load_b64 v[72:73], v119
	s_waitcnt vmcnt(1)
	v_mul_f64 v[68:69], v[66:67], v[4:5]
	v_mul_f64 v[66:67], v[66:67], v[6:7]
	s_waitcnt lgkmcnt(0)
	s_delay_alu instid0(VALU_DEP_2) | instskip(NEXT) | instid1(VALU_DEP_2)
	v_fma_f64 v[68:69], v[72:73], v[6:7], v[68:69]
	v_fma_f64 v[66:67], v[72:73], v[4:5], -v[66:67]
	s_waitcnt vmcnt(0)
	v_mul_f64 v[6:7], v[70:71], v[10:11]
	v_mul_f64 v[72:73], v[70:71], v[8:9]
	ds_load_b64 v[74:75], v118
	ds_load_b64 v[4:5], v117
	v_mul_f64 v[116:117], v[154:155], s[44:45]
	v_mul_f64 v[118:119], v[148:149], s[18:19]
	v_add_f64 v[160:161], v[68:69], -v[62:63]
	s_waitcnt lgkmcnt(1)
	v_fma_f64 v[70:71], v[74:75], v[8:9], -v[6:7]
	v_fma_f64 v[72:73], v[74:75], v[10:11], v[72:73]
	v_mul_lo_u32 v8, s3, v94
	v_mul_lo_u32 v9, s2, v95
	v_mad_u64_u32 v[6:7], null, s2, v94, 0
	s_mov_b32 s2, 0x2b2883cd
	s_mov_b32 s3, 0x3fdc86fa
	s_delay_alu instid0(VALU_DEP_1) | instskip(NEXT) | instid1(VALU_DEP_1)
	v_add3_u32 v7, v7, v9, v8
	v_lshlrev_b64 v[6:7], 4, v[6:7]
	s_delay_alu instid0(VALU_DEP_1) | instskip(NEXT) | instid1(VALU_DEP_2)
	v_add_co_u32 v28, vcc_lo, s6, v6
	v_add_co_ci_u32_e32 v29, vcc_lo, s7, v7, vcc_lo
	v_lshlrev_b64 v[6:7], 4, v[92:93]
	s_mov_b32 s6, 0x3259b75e
	s_mov_b32 s7, 0x3fb79ee6
	v_mul_f64 v[92:93], v[158:159], s[28:29]
	s_delay_alu instid0(VALU_DEP_2) | instskip(NEXT) | instid1(VALU_DEP_3)
	v_add_co_u32 v197, vcc_lo, v28, v6
	v_add_co_ci_u32_e32 v198, vcc_lo, v29, v7, vcc_lo
	v_mul_f64 v[94:95], v[160:161], s[38:39]
	s_waitcnt lgkmcnt(0)
	v_add_f64 v[8:9], v[4:5], v[70:71]
	v_add_f64 v[10:11], v[134:135], v[72:73]
	v_add_f64 v[172:173], v[72:73], -v[64:65]
	s_delay_alu instid0(VALU_DEP_3) | instskip(NEXT) | instid1(VALU_DEP_3)
	v_add_f64 v[8:9], v[66:67], v[8:9]
	v_add_f64 v[10:11], v[68:69], v[10:11]
	s_delay_alu instid0(VALU_DEP_3) | instskip(NEXT) | instid1(VALU_DEP_3)
	v_mul_f64 v[28:29], v[172:173], s[36:37]
	v_add_f64 v[8:9], v[50:51], v[8:9]
	s_delay_alu instid0(VALU_DEP_3) | instskip(SKIP_3) | instid1(VALU_DEP_2)
	v_add_f64 v[10:11], v[52:53], v[10:11]
	scratch_store_b64 off, v[28:29], off offset:104 ; 8-byte Folded Spill
	v_add_f64 v[8:9], v[48:49], v[8:9]
	v_add_f64 v[10:11], v[46:47], v[10:11]
	;; [unrolled: 1-line block ×3, first 2 shown]
	s_delay_alu instid0(VALU_DEP_2) | instskip(NEXT) | instid1(VALU_DEP_2)
	v_add_f64 v[10:11], v[40:41], v[10:11]
	v_add_f64 v[8:9], v[18:19], v[8:9]
	s_delay_alu instid0(VALU_DEP_2) | instskip(NEXT) | instid1(VALU_DEP_2)
	v_add_f64 v[10:11], v[38:39], v[10:11]
	v_add_f64 v[8:9], v[24:25], v[8:9]
	;; [unrolled: 3-line block ×11, first 2 shown]
	s_delay_alu instid0(VALU_DEP_2) | instskip(SKIP_1) | instid1(VALU_DEP_1)
	v_add_f64 v[8:9], v[64:65], v[74:75]
	v_mad_u64_u32 v[74:75], null, s12, v196, 0
	v_mad_u64_u32 v[76:77], null, s13, v196, v[75:76]
	s_delay_alu instid0(VALU_DEP_1) | instskip(NEXT) | instid1(VALU_DEP_1)
	v_mov_b32_e32 v75, v76
	v_lshlrev_b64 v[6:7], 4, v[74:75]
	s_delay_alu instid0(VALU_DEP_1) | instskip(NEXT) | instid1(VALU_DEP_2)
	v_add_co_u32 v6, vcc_lo, v197, v6
	v_add_co_ci_u32_e32 v7, vcc_lo, v198, v7, vcc_lo
	global_store_b128 v[6:7], v[8:11], off
	v_add_f64 v[8:9], v[26:27], v[20:21]
	v_add_f64 v[20:21], v[24:25], v[22:23]
	;; [unrolled: 1-line block ×9, first 2 shown]
	v_add_f64 v[2:3], v[70:71], -v[2:3]
	v_add_f64 v[16:17], v[48:49], v[56:57]
	v_add_f64 v[0:1], v[66:67], -v[0:1]
	v_add_f64 v[48:49], v[72:73], v[64:65]
	v_add_f64 v[6:7], v[30:31], v[34:35]
	;; [unrolled: 1-line block ×6, first 2 shown]
	v_mul_f64 v[56:57], v[172:173], s[42:43]
	v_mul_f64 v[64:65], v[160:161], s[28:29]
	;; [unrolled: 1-line block ×6, first 2 shown]
	s_mov_b32 s49, 0x3fe9895b
	s_mov_b32 s48, s28
	v_mul_f64 v[50:51], v[144:145], s[40:41]
	v_mul_f64 v[46:47], v[146:147], s[40:41]
	;; [unrolled: 1-line block ×6, first 2 shown]
	v_fma_f64 v[32:33], v[54:55], s[0:1], -v[28:29]
	v_mul_f64 v[28:29], v[160:161], s[40:41]
	v_mul_f64 v[80:81], v[2:3], s[40:41]
	;; [unrolled: 1-line block ×12, first 2 shown]
	v_add_f64 v[32:33], v[4:5], v[32:33]
	scratch_store_b64 off, v[28:29], off offset:88 ; 8-byte Folded Spill
	v_fma_f64 v[36:37], v[40:41], s[4:5], -v[28:29]
	v_mul_f64 v[28:29], v[2:3], s[36:37]
	v_fma_f64 v[176:177], v[34:35], s[10:11], v[170:171]
	v_fma_f64 v[211:212], v[34:35], s[8:9], v[209:210]
	;; [unrolled: 1-line block ×3, first 2 shown]
	v_add_f64 v[32:33], v[36:37], v[32:33]
	scratch_store_b64 off, v[28:29], off offset:120 ; 8-byte Folded Spill
	v_fma_f64 v[36:37], v[48:49], s[0:1], v[28:29]
	v_mul_f64 v[28:29], v[0:1], s[40:41]
	s_delay_alu instid0(VALU_DEP_2) | instskip(SKIP_3) | instid1(VALU_DEP_2)
	v_add_f64 v[36:37], v[134:135], v[36:37]
	scratch_store_b64 off, v[28:29], off offset:96 ; 8-byte Folded Spill
	v_fma_f64 v[38:39], v[34:35], s[4:5], v[28:29]
	v_mul_f64 v[28:29], v[156:157], s[42:43]
	v_add_f64 v[36:37], v[38:39], v[36:37]
	scratch_store_b64 off, v[28:29], off offset:112 ; 8-byte Folded Spill
	v_fma_f64 v[38:39], v[30:31], s[2:3], -v[28:29]
	v_mul_f64 v[28:29], v[158:159], s[42:43]
	s_delay_alu instid0(VALU_DEP_2) | instskip(SKIP_3) | instid1(VALU_DEP_2)
	v_add_f64 v[32:33], v[38:39], v[32:33]
	scratch_store_b64 off, v[28:29], off offset:72 ; 8-byte Folded Spill
	v_fma_f64 v[38:39], v[26:27], s[2:3], v[28:29]
	v_mul_f64 v[28:29], v[152:153], s[38:39]
	v_add_f64 v[36:37], v[38:39], v[36:37]
	scratch_store_b64 off, v[28:29], off offset:80 ; 8-byte Folded Spill
	v_fma_f64 v[38:39], v[16:17], s[6:7], -v[28:29]
	;; [unrolled: 9-line block ×5, first 2 shown]
	v_mul_f64 v[28:29], v[142:143], s[30:31]
	s_delay_alu instid0(VALU_DEP_2) | instskip(SKIP_4) | instid1(VALU_DEP_3)
	v_add_f64 v[32:33], v[36:37], v[32:33]
	scratch_store_b64 off, v[28:29], off offset:8 ; 8-byte Folded Spill
	v_fma_f64 v[72:73], v[10:11], s[8:9], v[28:29]
	v_mul_f64 v[28:29], v[136:137], s[34:35]
	v_mul_f64 v[36:37], v[138:139], s[22:23]
	v_add_f64 v[72:73], v[72:73], v[38:39]
	scratch_store_b64 off, v[28:29], off offset:16 ; 8-byte Folded Spill
	v_fma_f64 v[74:75], v[8:9], s[10:11], -v[28:29]
	v_mul_f64 v[28:29], v[138:139], s[34:35]
	v_mul_f64 v[38:39], v[136:137], s[22:23]
	s_delay_alu instid0(VALU_DEP_3) | instskip(NEXT) | instid1(VALU_DEP_3)
	v_add_f64 v[74:75], v[74:75], v[32:33]
	v_fma_f64 v[76:77], v[6:7], s[10:11], v[28:29]
	scratch_store_b64 off, v[28:29], off    ; 8-byte Folded Spill
	v_add_nc_u32_e32 v28, 0x77, v196
	v_add_f64 v[72:73], v[76:77], v[72:73]
	s_delay_alu instid0(VALU_DEP_2) | instskip(NEXT) | instid1(VALU_DEP_1)
	v_mad_u64_u32 v[76:77], null, s12, v28, 0
	v_mad_u64_u32 v[78:79], null, s13, v28, v[77:78]
	v_mul_f64 v[28:29], v[154:155], s[34:35]
	s_delay_alu instid0(VALU_DEP_2) | instskip(SKIP_1) | instid1(VALU_DEP_2)
	v_mov_b32_e32 v77, v78
	v_mul_f64 v[78:79], v[172:173], s[40:41]
	v_lshlrev_b64 v[76:77], 4, v[76:77]
	s_delay_alu instid0(VALU_DEP_1) | instskip(NEXT) | instid1(VALU_DEP_2)
	v_add_co_u32 v76, vcc_lo, v197, v76
	v_add_co_ci_u32_e32 v77, vcc_lo, v198, v77, vcc_lo
	global_store_b128 v[76:77], v[72:75], off
	v_fma_f64 v[74:75], v[40:41], s[6:7], -v[94:95]
	v_fma_f64 v[76:77], v[34:35], s[6:7], v[82:83]
	scratch_store_b64 off, v[28:29], off offset:184 ; 8-byte Folded Spill
	v_fma_f64 v[72:73], v[54:55], s[4:5], -v[78:79]
	s_delay_alu instid0(VALU_DEP_1) | instskip(NEXT) | instid1(VALU_DEP_1)
	v_add_f64 v[72:73], v[4:5], v[72:73]
	v_add_f64 v[72:73], v[74:75], v[72:73]
	v_fma_f64 v[74:75], v[48:49], s[4:5], v[80:81]
	s_delay_alu instid0(VALU_DEP_1) | instskip(NEXT) | instid1(VALU_DEP_1)
	v_add_f64 v[74:75], v[134:135], v[74:75]
	v_add_f64 v[74:75], v[76:77], v[74:75]
	v_fma_f64 v[76:77], v[30:31], s[16:17], -v[84:85]
	s_delay_alu instid0(VALU_DEP_1) | instskip(SKIP_1) | instid1(VALU_DEP_1)
	v_add_f64 v[72:73], v[76:77], v[72:73]
	v_fma_f64 v[76:77], v[26:27], s[16:17], v[92:93]
	v_add_f64 v[74:75], v[76:77], v[74:75]
	v_fma_f64 v[76:77], v[16:17], s[10:11], -v[90:91]
	s_delay_alu instid0(VALU_DEP_1) | instskip(SKIP_2) | instid1(VALU_DEP_2)
	v_add_f64 v[72:73], v[76:77], v[72:73]
	v_fma_f64 v[76:77], v[14:15], s[10:11], v[28:29]
	v_mul_f64 v[28:29], v[150:151], s[46:47]
	v_add_f64 v[74:75], v[76:77], v[74:75]
	v_fma_f64 v[76:77], v[18:19], s[8:9], -v[88:89]
	scratch_store_b64 off, v[28:29], off offset:168 ; 8-byte Folded Spill
	v_add_f64 v[72:73], v[76:77], v[72:73]
	v_fma_f64 v[76:77], v[12:13], s[8:9], v[28:29]
	v_mul_f64 v[28:29], v[144:145], s[44:45]
	s_delay_alu instid0(VALU_DEP_2) | instskip(SKIP_3) | instid1(VALU_DEP_2)
	v_add_f64 v[74:75], v[76:77], v[74:75]
	scratch_store_b64 off, v[28:29], off offset:176 ; 8-byte Folded Spill
	v_fma_f64 v[76:77], v[24:25], s[14:15], -v[28:29]
	v_mul_f64 v[28:29], v[146:147], s[44:45]
	v_add_f64 v[72:73], v[76:77], v[72:73]
	scratch_store_b64 off, v[28:29], off offset:160 ; 8-byte Folded Spill
	v_fma_f64 v[76:77], v[22:23], s[14:15], v[28:29]
	v_mul_f64 v[28:29], v[140:141], s[22:23]
	s_delay_alu instid0(VALU_DEP_2) | instskip(SKIP_3) | instid1(VALU_DEP_2)
	v_add_f64 v[74:75], v[76:77], v[74:75]
	scratch_store_b64 off, v[28:29], off offset:152 ; 8-byte Folded Spill
	v_fma_f64 v[76:77], v[20:21], s[2:3], -v[28:29]
	v_mul_f64 v[28:29], v[142:143], s[22:23]
	v_add_f64 v[72:73], v[76:77], v[72:73]
	scratch_store_b64 off, v[28:29], off offset:144 ; 8-byte Folded Spill
	v_fma_f64 v[104:105], v[10:11], s[2:3], v[28:29]
	v_mul_f64 v[28:29], v[136:137], s[24:25]
	s_delay_alu instid0(VALU_DEP_2) | instskip(SKIP_4) | instid1(VALU_DEP_3)
	v_add_f64 v[104:105], v[104:105], v[74:75]
	scratch_store_b64 off, v[28:29], off offset:136 ; 8-byte Folded Spill
	v_fma_f64 v[106:107], v[8:9], s[0:1], -v[28:29]
	v_mul_f64 v[28:29], v[138:139], s[24:25]
	v_mul_f64 v[74:75], v[146:147], s[36:37]
	v_add_f64 v[106:107], v[106:107], v[72:73]
	s_delay_alu instid0(VALU_DEP_3) | instskip(SKIP_4) | instid1(VALU_DEP_3)
	v_fma_f64 v[108:109], v[6:7], s[0:1], v[28:29]
	scratch_store_b64 off, v[28:29], off offset:128 ; 8-byte Folded Spill
	v_add_nc_u32_e32 v28, 0xee, v196
	v_mul_f64 v[72:73], v[144:145], s[36:37]
	v_add_f64 v[104:105], v[108:109], v[104:105]
	v_mad_u64_u32 v[108:109], null, s12, v28, 0
	s_delay_alu instid0(VALU_DEP_1) | instskip(NEXT) | instid1(VALU_DEP_1)
	v_mad_u64_u32 v[110:111], null, s13, v28, v[109:110]
	v_dual_mov_b32 v109, v110 :: v_dual_add_nc_u32 v28, 0x165, v196
	v_mul_f64 v[110:111], v[140:141], s[38:39]
	s_delay_alu instid0(VALU_DEP_2) | instskip(NEXT) | instid1(VALU_DEP_1)
	v_lshlrev_b64 v[108:109], 4, v[108:109]
	v_add_co_u32 v108, vcc_lo, v197, v108
	s_delay_alu instid0(VALU_DEP_2) | instskip(SKIP_4) | instid1(VALU_DEP_3)
	v_add_co_ci_u32_e32 v109, vcc_lo, v198, v109, vcc_lo
	global_store_b128 v[108:109], v[104:107], off
	v_fma_f64 v[104:105], v[54:55], s[2:3], -v[56:57]
	v_fma_f64 v[106:107], v[40:41], s[16:17], -v[64:65]
	v_fma_f64 v[108:109], v[34:35], s[16:17], v[62:63]
	v_add_f64 v[104:105], v[4:5], v[104:105]
	s_delay_alu instid0(VALU_DEP_1) | instskip(SKIP_1) | instid1(VALU_DEP_1)
	v_add_f64 v[104:105], v[106:107], v[104:105]
	v_fma_f64 v[106:107], v[48:49], s[2:3], v[58:59]
	v_add_f64 v[106:107], v[134:135], v[106:107]
	s_delay_alu instid0(VALU_DEP_1) | instskip(SKIP_1) | instid1(VALU_DEP_1)
	v_add_f64 v[106:107], v[108:109], v[106:107]
	v_fma_f64 v[108:109], v[30:31], s[10:11], -v[60:61]
	v_add_f64 v[104:105], v[108:109], v[104:105]
	v_fma_f64 v[108:109], v[26:27], s[10:11], v[66:67]
	s_delay_alu instid0(VALU_DEP_1) | instskip(SKIP_1) | instid1(VALU_DEP_1)
	v_add_f64 v[106:107], v[108:109], v[106:107]
	v_fma_f64 v[108:109], v[16:17], s[14:15], -v[68:69]
	v_add_f64 v[104:105], v[108:109], v[104:105]
	v_fma_f64 v[108:109], v[14:15], s[14:15], v[116:117]
	;; [unrolled: 5-line block ×4, first 2 shown]
	s_delay_alu instid0(VALU_DEP_1) | instskip(SKIP_1) | instid1(VALU_DEP_1)
	v_add_f64 v[106:107], v[108:109], v[106:107]
	v_fma_f64 v[108:109], v[20:21], s[6:7], -v[110:111]
	v_add_f64 v[104:105], v[108:109], v[104:105]
	v_mul_f64 v[108:109], v[142:143], s[38:39]
	s_delay_alu instid0(VALU_DEP_1) | instskip(NEXT) | instid1(VALU_DEP_1)
	v_fma_f64 v[162:163], v[10:11], s[6:7], v[108:109]
	v_add_f64 v[162:163], v[162:163], v[106:107]
	v_mul_f64 v[106:107], v[136:137], s[30:31]
	s_delay_alu instid0(VALU_DEP_1) | instskip(NEXT) | instid1(VALU_DEP_1)
	v_fma_f64 v[164:165], v[8:9], s[8:9], -v[106:107]
	v_add_f64 v[164:165], v[164:165], v[104:105]
	v_mul_f64 v[104:105], v[138:139], s[30:31]
	s_delay_alu instid0(VALU_DEP_1) | instskip(NEXT) | instid1(VALU_DEP_1)
	v_fma_f64 v[166:167], v[6:7], s[8:9], v[104:105]
	v_add_f64 v[162:163], v[166:167], v[162:163]
	v_mad_u64_u32 v[166:167], null, s12, v28, 0
	s_delay_alu instid0(VALU_DEP_1) | instskip(NEXT) | instid1(VALU_DEP_1)
	v_mad_u64_u32 v[168:169], null, s13, v28, v[167:168]
	v_dual_mov_b32 v167, v168 :: v_dual_add_nc_u32 v28, 0x1dc, v196
	s_delay_alu instid0(VALU_DEP_1) | instskip(NEXT) | instid1(VALU_DEP_1)
	v_lshlrev_b64 v[166:167], 4, v[166:167]
	v_add_co_u32 v166, vcc_lo, v197, v166
	s_delay_alu instid0(VALU_DEP_2) | instskip(SKIP_2) | instid1(VALU_DEP_1)
	v_add_co_ci_u32_e32 v167, vcc_lo, v198, v167, vcc_lo
	global_store_b128 v[166:167], v[162:165], off
	v_mul_f64 v[162:163], v[172:173], s[38:39]
	v_fma_f64 v[164:165], v[54:55], s[6:7], -v[162:163]
	s_delay_alu instid0(VALU_DEP_1) | instskip(SKIP_1) | instid1(VALU_DEP_1)
	v_add_f64 v[166:167], v[4:5], v[164:165]
	v_mul_f64 v[164:165], v[160:161], s[34:35]
	v_fma_f64 v[168:169], v[40:41], s[10:11], -v[164:165]
	s_delay_alu instid0(VALU_DEP_1) | instskip(SKIP_1) | instid1(VALU_DEP_1)
	v_add_f64 v[174:175], v[168:169], v[166:167]
	v_mul_f64 v[166:167], v[2:3], s[38:39]
	v_fma_f64 v[168:169], v[48:49], s[6:7], v[166:167]
	s_delay_alu instid0(VALU_DEP_1) | instskip(NEXT) | instid1(VALU_DEP_1)
	v_add_f64 v[168:169], v[134:135], v[168:169]
	v_add_f64 v[176:177], v[176:177], v[168:169]
	v_mul_f64 v[168:169], v[156:157], s[44:45]
	s_delay_alu instid0(VALU_DEP_1) | instskip(NEXT) | instid1(VALU_DEP_1)
	v_fma_f64 v[178:179], v[30:31], s[14:15], -v[168:169]
	v_add_f64 v[178:179], v[178:179], v[174:175]
	v_mul_f64 v[174:175], v[158:159], s[44:45]
	s_delay_alu instid0(VALU_DEP_1) | instskip(NEXT) | instid1(VALU_DEP_1)
	v_fma_f64 v[180:181], v[26:27], s[14:15], v[174:175]
	v_add_f64 v[180:181], v[180:181], v[176:177]
	v_mul_f64 v[176:177], v[152:153], s[24:25]
	s_delay_alu instid0(VALU_DEP_1) | instskip(NEXT) | instid1(VALU_DEP_1)
	v_fma_f64 v[182:183], v[16:17], s[0:1], -v[176:177]
	v_add_f64 v[182:183], v[182:183], v[178:179]
	v_mul_f64 v[178:179], v[154:155], s[24:25]
	s_delay_alu instid0(VALU_DEP_1) | instskip(NEXT) | instid1(VALU_DEP_1)
	v_fma_f64 v[184:185], v[14:15], s[0:1], v[178:179]
	;; [unrolled: 8-line block ×5, first 2 shown]
	v_add_f64 v[199:200], v[199:200], v[192:193]
	v_mul_f64 v[192:193], v[136:137], s[18:19]
	v_mul_f64 v[136:137], v[136:137], s[20:21]
	s_delay_alu instid0(VALU_DEP_2) | instskip(NEXT) | instid1(VALU_DEP_1)
	v_fma_f64 v[201:202], v[8:9], s[4:5], -v[192:193]
	v_add_f64 v[201:202], v[201:202], v[194:195]
	v_mul_f64 v[194:195], v[138:139], s[18:19]
	s_delay_alu instid0(VALU_DEP_1) | instskip(NEXT) | instid1(VALU_DEP_1)
	v_fma_f64 v[203:204], v[6:7], s[4:5], v[194:195]
	v_add_f64 v[199:200], v[203:204], v[199:200]
	v_mad_u64_u32 v[203:204], null, s12, v28, 0
	s_delay_alu instid0(VALU_DEP_1) | instskip(SKIP_1) | instid1(VALU_DEP_2)
	v_mad_u64_u32 v[205:206], null, s13, v28, v[204:205]
	v_add_nc_u32_e32 v28, 0x253, v196
	v_mov_b32_e32 v204, v205
	v_mul_f64 v[205:206], v[160:161], s[46:47]
	s_delay_alu instid0(VALU_DEP_2) | instskip(NEXT) | instid1(VALU_DEP_1)
	v_lshlrev_b64 v[203:204], 4, v[203:204]
	v_add_co_u32 v203, vcc_lo, v197, v203
	s_delay_alu instid0(VALU_DEP_2) | instskip(SKIP_3) | instid1(VALU_DEP_2)
	v_add_co_ci_u32_e32 v204, vcc_lo, v198, v204, vcc_lo
	global_store_b128 v[203:204], v[199:202], off
	v_mul_f64 v[203:204], v[172:173], s[26:27]
	v_fma_f64 v[201:202], v[40:41], s[8:9], -v[205:206]
	v_fma_f64 v[199:200], v[54:55], s[14:15], -v[203:204]
	s_delay_alu instid0(VALU_DEP_1) | instskip(NEXT) | instid1(VALU_DEP_1)
	v_add_f64 v[199:200], v[4:5], v[199:200]
	v_add_f64 v[199:200], v[201:202], v[199:200]
	v_fma_f64 v[201:202], v[48:49], s[14:15], v[207:208]
	s_delay_alu instid0(VALU_DEP_1) | instskip(NEXT) | instid1(VALU_DEP_1)
	v_add_f64 v[201:202], v[134:135], v[201:202]
	v_add_f64 v[201:202], v[211:212], v[201:202]
	v_mul_f64 v[211:212], v[156:157], s[18:19]
	s_delay_alu instid0(VALU_DEP_1) | instskip(NEXT) | instid1(VALU_DEP_1)
	v_fma_f64 v[213:214], v[30:31], s[4:5], -v[211:212]
	v_add_f64 v[199:200], v[213:214], v[199:200]
	v_mul_f64 v[213:214], v[158:159], s[18:19]
	s_delay_alu instid0(VALU_DEP_1) | instskip(NEXT) | instid1(VALU_DEP_1)
	v_fma_f64 v[215:216], v[26:27], s[4:5], v[213:214]
	v_add_f64 v[201:202], v[215:216], v[201:202]
	v_mul_f64 v[215:216], v[152:153], s[42:43]
	s_delay_alu instid0(VALU_DEP_1) | instskip(NEXT) | instid1(VALU_DEP_1)
	v_fma_f64 v[217:218], v[16:17], s[2:3], -v[215:216]
	v_add_f64 v[199:200], v[217:218], v[199:200]
	v_mul_f64 v[217:218], v[154:155], s[42:43]
	s_delay_alu instid0(VALU_DEP_1) | instskip(NEXT) | instid1(VALU_DEP_1)
	v_fma_f64 v[219:220], v[14:15], s[2:3], v[217:218]
	;; [unrolled: 8-line block ×3, first 2 shown]
	v_add_f64 v[201:202], v[223:224], v[201:202]
	v_mul_f64 v[223:224], v[144:145], s[20:21]
	v_mul_f64 v[144:145], v[144:145], s[22:23]
	s_delay_alu instid0(VALU_DEP_2) | instskip(NEXT) | instid1(VALU_DEP_1)
	v_fma_f64 v[225:226], v[24:25], s[6:7], -v[223:224]
	v_add_f64 v[199:200], v[225:226], v[199:200]
	v_mul_f64 v[225:226], v[146:147], s[20:21]
	v_mul_f64 v[146:147], v[146:147], s[22:23]
	s_delay_alu instid0(VALU_DEP_2) | instskip(NEXT) | instid1(VALU_DEP_1)
	v_fma_f64 v[227:228], v[22:23], s[6:7], v[225:226]
	v_add_f64 v[201:202], v[227:228], v[201:202]
	v_mul_f64 v[227:228], v[140:141], s[36:37]
	v_mul_f64 v[140:141], v[140:141], s[26:27]
	s_delay_alu instid0(VALU_DEP_2) | instskip(NEXT) | instid1(VALU_DEP_1)
	v_fma_f64 v[229:230], v[20:21], s[0:1], -v[227:228]
	v_add_f64 v[199:200], v[229:230], v[199:200]
	v_mul_f64 v[229:230], v[142:143], s[36:37]
	v_mul_f64 v[142:143], v[142:143], s[26:27]
	s_delay_alu instid0(VALU_DEP_2) | instskip(NEXT) | instid1(VALU_DEP_1)
	v_fma_f64 v[231:232], v[10:11], s[0:1], v[229:230]
	v_add_f64 v[231:232], v[231:232], v[201:202]
	v_fma_f64 v[201:202], v[8:9], s[16:17], -v[233:234]
	s_delay_alu instid0(VALU_DEP_1) | instskip(SKIP_1) | instid1(VALU_DEP_1)
	v_add_f64 v[201:202], v[201:202], v[199:200]
	v_fma_f64 v[199:200], v[6:7], s[16:17], v[235:236]
	v_add_f64 v[199:200], v[199:200], v[231:232]
	v_mad_u64_u32 v[231:232], null, s12, v28, 0
	s_delay_alu instid0(VALU_DEP_1) | instskip(SKIP_1) | instid1(VALU_DEP_2)
	v_mad_u64_u32 v[237:238], null, s13, v28, v[232:233]
	v_add_nc_u32_e32 v28, 0x2ca, v196
	v_mov_b32_e32 v232, v237
	v_mul_f64 v[237:238], v[160:161], s[44:45]
	s_delay_alu instid0(VALU_DEP_2) | instskip(NEXT) | instid1(VALU_DEP_1)
	v_lshlrev_b64 v[231:232], 4, v[231:232]
	v_add_co_u32 v231, vcc_lo, v197, v231
	s_delay_alu instid0(VALU_DEP_2) | instskip(SKIP_3) | instid1(VALU_DEP_2)
	v_add_co_ci_u32_e32 v232, vcc_lo, v198, v232, vcc_lo
	global_store_b128 v[231:232], v[199:202], off
	v_mul_f64 v[231:232], v[172:173], s[28:29]
	v_fma_f64 v[201:202], v[40:41], s[14:15], -v[237:238]
	v_fma_f64 v[199:200], v[54:55], s[16:17], -v[231:232]
	s_delay_alu instid0(VALU_DEP_1) | instskip(NEXT) | instid1(VALU_DEP_1)
	v_add_f64 v[199:200], v[4:5], v[199:200]
	v_add_f64 v[199:200], v[201:202], v[199:200]
	v_fma_f64 v[201:202], v[48:49], s[16:17], v[239:240]
	s_delay_alu instid0(VALU_DEP_1) | instskip(NEXT) | instid1(VALU_DEP_1)
	v_add_f64 v[201:202], v[134:135], v[201:202]
	v_add_f64 v[201:202], v[243:244], v[201:202]
	v_mul_f64 v[243:244], v[156:157], s[36:37]
	v_mul_f64 v[156:157], v[156:157], s[30:31]
	s_delay_alu instid0(VALU_DEP_2) | instskip(NEXT) | instid1(VALU_DEP_1)
	v_fma_f64 v[245:246], v[30:31], s[0:1], -v[243:244]
	v_add_f64 v[199:200], v[245:246], v[199:200]
	v_mul_f64 v[245:246], v[158:159], s[36:37]
	v_mul_f64 v[158:159], v[158:159], s[30:31]
	s_delay_alu instid0(VALU_DEP_2) | instskip(NEXT) | instid1(VALU_DEP_1)
	v_fma_f64 v[247:248], v[26:27], s[0:1], v[245:246]
	v_add_f64 v[201:202], v[247:248], v[201:202]
	v_mul_f64 v[247:248], v[152:153], s[30:31]
	v_mul_f64 v[152:153], v[152:153], s[18:19]
	s_delay_alu instid0(VALU_DEP_2) | instskip(NEXT) | instid1(VALU_DEP_1)
	v_fma_f64 v[249:250], v[16:17], s[8:9], -v[247:248]
	v_add_f64 v[199:200], v[249:250], v[199:200]
	v_mul_f64 v[249:250], v[154:155], s[30:31]
	v_mul_f64 v[154:155], v[154:155], s[18:19]
	s_delay_alu instid0(VALU_DEP_2) | instskip(NEXT) | instid1(VALU_DEP_1)
	v_fma_f64 v[251:252], v[14:15], s[8:9], v[249:250]
	;; [unrolled: 10-line block ×3, first 2 shown]
	v_add_f64 v[32:33], v[32:33], v[201:202]
	v_fma_f64 v[201:202], v[24:25], s[4:5], -v[50:51]
	s_delay_alu instid0(VALU_DEP_1) | instskip(SKIP_1) | instid1(VALU_DEP_1)
	v_add_f64 v[199:200], v[201:202], v[199:200]
	v_fma_f64 v[201:202], v[22:23], s[4:5], v[46:47]
	v_add_f64 v[32:33], v[201:202], v[32:33]
	v_fma_f64 v[201:202], v[20:21], s[10:11], -v[44:45]
	s_delay_alu instid0(VALU_DEP_1) | instskip(SKIP_1) | instid1(VALU_DEP_1)
	v_add_f64 v[199:200], v[201:202], v[199:200]
	v_fma_f64 v[201:202], v[10:11], s[10:11], v[42:43]
	;; [unrolled: 5-line block ×3, first 2 shown]
	v_add_f64 v[199:200], v[199:200], v[32:33]
	v_mad_u64_u32 v[32:33], null, s12, v28, 0
	s_delay_alu instid0(VALU_DEP_1) | instskip(SKIP_1) | instid1(VALU_DEP_2)
	v_mad_u64_u32 v[52:53], null, s13, v28, v[33:34]
	v_mul_f64 v[28:29], v[160:161], s[22:23]
	v_mov_b32_e32 v33, v52
	s_delay_alu instid0(VALU_DEP_1) | instskip(NEXT) | instid1(VALU_DEP_1)
	v_lshlrev_b64 v[32:33], 4, v[32:33]
	v_add_co_u32 v32, vcc_lo, v197, v32
	s_delay_alu instid0(VALU_DEP_2) | instskip(SKIP_4) | instid1(VALU_DEP_3)
	v_add_co_ci_u32_e32 v33, vcc_lo, v198, v33, vcc_lo
	global_store_b128 v[32:33], v[199:202], off
	v_mul_f64 v[32:33], v[172:173], s[30:31]
	v_fma_f64 v[201:202], v[34:35], s[2:3], v[98:99]
	v_fma_f64 v[199:200], v[40:41], s[2:3], -v[28:29]
	v_fma_f64 v[52:53], v[54:55], s[8:9], -v[32:33]
	s_delay_alu instid0(VALU_DEP_1) | instskip(NEXT) | instid1(VALU_DEP_1)
	v_add_f64 v[52:53], v[4:5], v[52:53]
	v_add_f64 v[52:53], v[199:200], v[52:53]
	v_fma_f64 v[199:200], v[48:49], s[8:9], v[96:97]
	s_delay_alu instid0(VALU_DEP_1) | instskip(NEXT) | instid1(VALU_DEP_1)
	v_add_f64 v[199:200], v[134:135], v[199:200]
	v_add_f64 v[199:200], v[201:202], v[199:200]
	v_fma_f64 v[201:202], v[30:31], s[6:7], -v[100:101]
	s_delay_alu instid0(VALU_DEP_1) | instskip(SKIP_1) | instid1(VALU_DEP_1)
	v_add_f64 v[52:53], v[201:202], v[52:53]
	v_fma_f64 v[201:202], v[26:27], s[6:7], v[102:103]
	v_add_f64 v[199:200], v[201:202], v[199:200]
	v_fma_f64 v[201:202], v[16:17], s[16:17], -v[112:113]
	s_delay_alu instid0(VALU_DEP_1) | instskip(SKIP_1) | instid1(VALU_DEP_1)
	v_add_f64 v[52:53], v[201:202], v[52:53]
	v_fma_f64 v[201:202], v[14:15], s[16:17], v[114:115]
	;; [unrolled: 5-line block ×5, first 2 shown]
	v_add_f64 v[199:200], v[201:202], v[199:200]
	v_fma_f64 v[201:202], v[8:9], s[14:15], -v[132:133]
	s_delay_alu instid0(VALU_DEP_1) | instskip(SKIP_2) | instid1(VALU_DEP_2)
	v_add_f64 v[201:202], v[201:202], v[52:53]
	v_mul_f64 v[52:53], v[138:139], s[26:27]
	v_mul_f64 v[138:139], v[138:139], s[20:21]
	v_fma_f64 v[76:77], v[6:7], s[14:15], v[52:53]
	s_delay_alu instid0(VALU_DEP_1) | instskip(SKIP_1) | instid1(VALU_DEP_1)
	v_add_f64 v[199:200], v[76:77], v[199:200]
	v_mad_u64_u32 v[76:77], null, s12, v255, 0
	v_mad_u64_u32 v[86:87], null, s13, v255, v[77:78]
	v_add_nc_u32_e32 v255, 0x3b8, v196
	s_delay_alu instid0(VALU_DEP_2) | instskip(SKIP_1) | instid1(VALU_DEP_2)
	v_mov_b32_e32 v77, v86
	v_mul_f64 v[86:87], v[160:161], s[24:25]
	v_lshlrev_b64 v[76:77], 4, v[76:77]
	s_delay_alu instid0(VALU_DEP_1) | instskip(NEXT) | instid1(VALU_DEP_2)
	v_add_co_u32 v76, vcc_lo, v197, v76
	v_add_co_ci_u32_e32 v77, vcc_lo, v198, v77, vcc_lo
	global_store_b128 v[76:77], v[199:202], off
	v_mul_f64 v[76:77], v[172:173], s[34:35]
	v_mul_f64 v[199:200], v[0:1], s[24:25]
	v_fma_f64 v[172:173], v[40:41], s[0:1], -v[86:87]
	s_delay_alu instid0(VALU_DEP_3) | instskip(NEXT) | instid1(VALU_DEP_1)
	v_fma_f64 v[160:161], v[54:55], s[10:11], -v[76:77]
	v_add_f64 v[160:161], v[4:5], v[160:161]
	s_delay_alu instid0(VALU_DEP_1) | instskip(SKIP_2) | instid1(VALU_DEP_2)
	v_add_f64 v[160:161], v[172:173], v[160:161]
	v_mul_f64 v[172:173], v[2:3], s[34:35]
	v_fma_f64 v[2:3], v[34:35], s[0:1], v[199:200]
	v_fma_f64 v[0:1], v[48:49], s[10:11], v[172:173]
	s_delay_alu instid0(VALU_DEP_1) | instskip(NEXT) | instid1(VALU_DEP_1)
	v_add_f64 v[0:1], v[134:135], v[0:1]
	v_add_f64 v[0:1], v[2:3], v[0:1]
	v_fma_f64 v[2:3], v[30:31], s[8:9], -v[156:157]
	s_delay_alu instid0(VALU_DEP_1) | instskip(SKIP_1) | instid1(VALU_DEP_1)
	v_add_f64 v[2:3], v[2:3], v[160:161]
	v_fma_f64 v[160:161], v[26:27], s[8:9], v[158:159]
	v_add_f64 v[0:1], v[160:161], v[0:1]
	v_fma_f64 v[160:161], v[16:17], s[4:5], -v[152:153]
	s_delay_alu instid0(VALU_DEP_1) | instskip(SKIP_1) | instid1(VALU_DEP_1)
	v_add_f64 v[2:3], v[160:161], v[2:3]
	v_fma_f64 v[160:161], v[14:15], s[4:5], v[154:155]
	;; [unrolled: 5-line block ×6, first 2 shown]
	v_add_f64 v[0:1], v[160:161], v[0:1]
	v_mad_u64_u32 v[160:161], null, s12, v255, 0
	s_delay_alu instid0(VALU_DEP_1) | instskip(NEXT) | instid1(VALU_DEP_1)
	v_mad_u64_u32 v[201:202], null, s13, v255, v[161:162]
	v_mov_b32_e32 v161, v201
	s_delay_alu instid0(VALU_DEP_1) | instskip(NEXT) | instid1(VALU_DEP_1)
	v_lshlrev_b64 v[160:161], 4, v[160:161]
	v_add_co_u32 v160, vcc_lo, v197, v160
	s_delay_alu instid0(VALU_DEP_2)
	v_add_co_ci_u32_e32 v161, vcc_lo, v198, v161, vcc_lo
	global_store_b128 v[160:161], v[0:3], off
	v_fma_f64 v[0:1], v[54:55], s[10:11], v[76:77]
	v_fma_f64 v[2:3], v[40:41], s[0:1], v[86:87]
	v_fma_f64 v[76:77], v[34:35], s[0:1], -v[199:200]
	v_fma_f64 v[86:87], v[6:7], s[6:7], -v[138:139]
	s_delay_alu instid0(VALU_DEP_4) | instskip(NEXT) | instid1(VALU_DEP_1)
	v_add_f64 v[0:1], v[4:5], v[0:1]
	v_add_f64 v[0:1], v[2:3], v[0:1]
	v_fma_f64 v[2:3], v[48:49], s[10:11], -v[172:173]
	s_delay_alu instid0(VALU_DEP_1) | instskip(NEXT) | instid1(VALU_DEP_1)
	v_add_f64 v[2:3], v[134:135], v[2:3]
	v_add_f64 v[2:3], v[76:77], v[2:3]
	v_fma_f64 v[76:77], v[30:31], s[8:9], v[156:157]
	s_delay_alu instid0(VALU_DEP_1) | instskip(SKIP_1) | instid1(VALU_DEP_1)
	v_add_f64 v[0:1], v[76:77], v[0:1]
	v_fma_f64 v[76:77], v[26:27], s[8:9], -v[158:159]
	v_add_f64 v[2:3], v[76:77], v[2:3]
	v_fma_f64 v[76:77], v[16:17], s[4:5], v[152:153]
	s_delay_alu instid0(VALU_DEP_1) | instskip(SKIP_1) | instid1(VALU_DEP_1)
	v_add_f64 v[0:1], v[76:77], v[0:1]
	v_fma_f64 v[76:77], v[14:15], s[4:5], -v[154:155]
	;; [unrolled: 5-line block ×5, first 2 shown]
	v_add_f64 v[76:77], v[76:77], v[2:3]
	v_fma_f64 v[2:3], v[8:9], s[6:7], v[136:137]
	v_add_nc_u32_e32 v136, 0x42f, v196
	s_delay_alu instid0(VALU_DEP_2) | instskip(NEXT) | instid1(VALU_DEP_4)
	v_add_f64 v[2:3], v[2:3], v[0:1]
	v_add_f64 v[0:1], v[86:87], v[76:77]
	s_delay_alu instid0(VALU_DEP_3) | instskip(NEXT) | instid1(VALU_DEP_1)
	v_mad_u64_u32 v[76:77], null, s12, v136, 0
	v_mad_u64_u32 v[86:87], null, s13, v136, v[77:78]
	s_delay_alu instid0(VALU_DEP_1) | instskip(NEXT) | instid1(VALU_DEP_1)
	v_mov_b32_e32 v77, v86
	v_lshlrev_b64 v[76:77], 4, v[76:77]
	s_delay_alu instid0(VALU_DEP_1) | instskip(NEXT) | instid1(VALU_DEP_2)
	v_add_co_u32 v76, vcc_lo, v197, v76
	v_add_co_ci_u32_e32 v77, vcc_lo, v198, v77, vcc_lo
	global_store_b128 v[76:77], v[0:3], off
	v_fma_f64 v[0:1], v[54:55], s[8:9], v[32:33]
	v_fma_f64 v[2:3], v[40:41], s[2:3], v[28:29]
	v_fma_f64 v[28:29], v[34:35], s[2:3], -v[98:99]
	v_fma_f64 v[32:33], v[6:7], s[14:15], -v[52:53]
	v_add_nc_u32_e32 v52, 0x4a6, v196
	v_add_f64 v[0:1], v[4:5], v[0:1]
	s_delay_alu instid0(VALU_DEP_1) | instskip(SKIP_1) | instid1(VALU_DEP_1)
	v_add_f64 v[0:1], v[2:3], v[0:1]
	v_fma_f64 v[2:3], v[48:49], s[8:9], -v[96:97]
	v_add_f64 v[2:3], v[134:135], v[2:3]
	s_delay_alu instid0(VALU_DEP_1) | instskip(SKIP_1) | instid1(VALU_DEP_1)
	v_add_f64 v[2:3], v[28:29], v[2:3]
	v_fma_f64 v[28:29], v[30:31], s[6:7], v[100:101]
	v_add_f64 v[0:1], v[28:29], v[0:1]
	v_fma_f64 v[28:29], v[26:27], s[6:7], -v[102:103]
	s_delay_alu instid0(VALU_DEP_1) | instskip(SKIP_1) | instid1(VALU_DEP_1)
	v_add_f64 v[2:3], v[28:29], v[2:3]
	v_fma_f64 v[28:29], v[16:17], s[16:17], v[112:113]
	v_add_f64 v[0:1], v[28:29], v[0:1]
	v_fma_f64 v[28:29], v[14:15], s[16:17], -v[114:115]
	;; [unrolled: 5-line block ×5, first 2 shown]
	s_delay_alu instid0(VALU_DEP_1) | instskip(SKIP_1) | instid1(VALU_DEP_1)
	v_add_f64 v[28:29], v[28:29], v[2:3]
	v_fma_f64 v[2:3], v[8:9], s[14:15], v[132:133]
	v_add_f64 v[2:3], v[2:3], v[0:1]
	s_delay_alu instid0(VALU_DEP_3) | instskip(SKIP_1) | instid1(VALU_DEP_1)
	v_add_f64 v[0:1], v[32:33], v[28:29]
	v_mad_u64_u32 v[28:29], null, s12, v52, 0
	v_mad_u64_u32 v[32:33], null, s13, v52, v[29:30]
	v_fma_f64 v[52:53], v[34:35], s[6:7], -v[82:83]
	s_delay_alu instid0(VALU_DEP_2) | instskip(SKIP_2) | instid1(VALU_DEP_3)
	v_mov_b32_e32 v29, v32
	v_fma_f64 v[32:33], v[6:7], s[2:3], -v[36:37]
	v_add_nc_u32_e32 v36, 0x51d, v196
	v_lshlrev_b64 v[28:29], 4, v[28:29]
	s_delay_alu instid0(VALU_DEP_1) | instskip(NEXT) | instid1(VALU_DEP_2)
	v_add_co_u32 v28, vcc_lo, v197, v28
	v_add_co_ci_u32_e32 v29, vcc_lo, v198, v29, vcc_lo
	global_store_b128 v[28:29], v[0:3], off
	v_fma_f64 v[0:1], v[54:55], s[16:17], v[231:232]
	v_fma_f64 v[2:3], v[40:41], s[14:15], v[237:238]
	v_fma_f64 v[28:29], v[34:35], s[14:15], -v[241:242]
	s_delay_alu instid0(VALU_DEP_3) | instskip(NEXT) | instid1(VALU_DEP_1)
	v_add_f64 v[0:1], v[4:5], v[0:1]
	v_add_f64 v[0:1], v[2:3], v[0:1]
	v_fma_f64 v[2:3], v[48:49], s[16:17], -v[239:240]
	s_delay_alu instid0(VALU_DEP_1) | instskip(NEXT) | instid1(VALU_DEP_1)
	v_add_f64 v[2:3], v[134:135], v[2:3]
	v_add_f64 v[2:3], v[28:29], v[2:3]
	v_fma_f64 v[28:29], v[30:31], s[0:1], v[243:244]
	s_delay_alu instid0(VALU_DEP_1) | instskip(SKIP_1) | instid1(VALU_DEP_1)
	v_add_f64 v[0:1], v[28:29], v[0:1]
	v_fma_f64 v[28:29], v[26:27], s[0:1], -v[245:246]
	v_add_f64 v[2:3], v[28:29], v[2:3]
	v_fma_f64 v[28:29], v[16:17], s[8:9], v[247:248]
	s_delay_alu instid0(VALU_DEP_1) | instskip(SKIP_1) | instid1(VALU_DEP_1)
	v_add_f64 v[0:1], v[28:29], v[0:1]
	v_fma_f64 v[28:29], v[14:15], s[8:9], -v[249:250]
	;; [unrolled: 5-line block ×3, first 2 shown]
	v_add_f64 v[2:3], v[28:29], v[2:3]
	v_fma_f64 v[28:29], v[24:25], s[4:5], v[50:51]
	scratch_load_b64 v[50:51], off, off offset:88 ; 8-byte Folded Reload
	v_add_f64 v[0:1], v[28:29], v[0:1]
	v_fma_f64 v[28:29], v[22:23], s[4:5], -v[46:47]
	v_fma_f64 v[46:47], v[40:41], s[16:17], v[64:65]
	s_delay_alu instid0(VALU_DEP_2)
	v_add_f64 v[2:3], v[28:29], v[2:3]
	v_fma_f64 v[28:29], v[20:21], s[10:11], v[44:45]
	scratch_load_b64 v[44:45], off, off offset:120 ; 8-byte Folded Reload
	v_add_f64 v[0:1], v[28:29], v[0:1]
	v_fma_f64 v[28:29], v[10:11], s[10:11], -v[42:43]
	v_fma_f64 v[42:43], v[48:49], s[4:5], -v[80:81]
	s_delay_alu instid0(VALU_DEP_2) | instskip(SKIP_2) | instid1(VALU_DEP_2)
	v_add_f64 v[28:29], v[28:29], v[2:3]
	v_fma_f64 v[2:3], v[8:9], s[2:3], v[38:39]
	v_fma_f64 v[38:39], v[6:7], s[4:5], -v[194:195]
	v_add_f64 v[2:3], v[2:3], v[0:1]
	s_delay_alu instid0(VALU_DEP_4) | instskip(SKIP_1) | instid1(VALU_DEP_1)
	v_add_f64 v[0:1], v[32:33], v[28:29]
	v_mad_u64_u32 v[28:29], null, s12, v36, 0
	v_mad_u64_u32 v[32:33], null, s13, v36, v[29:30]
	v_fma_f64 v[36:37], v[34:35], s[10:11], -v[170:171]
	s_delay_alu instid0(VALU_DEP_2) | instskip(SKIP_1) | instid1(VALU_DEP_2)
	v_mov_b32_e32 v29, v32
	v_fma_f64 v[32:33], v[6:7], s[16:17], -v[235:236]
	v_lshlrev_b64 v[28:29], 4, v[28:29]
	s_delay_alu instid0(VALU_DEP_1) | instskip(NEXT) | instid1(VALU_DEP_2)
	v_add_co_u32 v28, vcc_lo, v197, v28
	v_add_co_ci_u32_e32 v29, vcc_lo, v198, v29, vcc_lo
	global_store_b128 v[28:29], v[0:3], off
	v_fma_f64 v[0:1], v[54:55], s[14:15], v[203:204]
	v_fma_f64 v[2:3], v[40:41], s[8:9], v[205:206]
	v_fma_f64 v[28:29], v[34:35], s[8:9], -v[209:210]
	s_delay_alu instid0(VALU_DEP_3) | instskip(NEXT) | instid1(VALU_DEP_1)
	v_add_f64 v[0:1], v[4:5], v[0:1]
	v_add_f64 v[0:1], v[2:3], v[0:1]
	v_fma_f64 v[2:3], v[48:49], s[14:15], -v[207:208]
	s_delay_alu instid0(VALU_DEP_1) | instskip(NEXT) | instid1(VALU_DEP_1)
	v_add_f64 v[2:3], v[134:135], v[2:3]
	v_add_f64 v[2:3], v[28:29], v[2:3]
	v_fma_f64 v[28:29], v[30:31], s[4:5], v[211:212]
	s_delay_alu instid0(VALU_DEP_1) | instskip(SKIP_1) | instid1(VALU_DEP_1)
	v_add_f64 v[0:1], v[28:29], v[0:1]
	v_fma_f64 v[28:29], v[26:27], s[4:5], -v[213:214]
	v_add_f64 v[2:3], v[28:29], v[2:3]
	v_fma_f64 v[28:29], v[16:17], s[2:3], v[215:216]
	s_delay_alu instid0(VALU_DEP_1) | instskip(SKIP_1) | instid1(VALU_DEP_1)
	v_add_f64 v[0:1], v[28:29], v[0:1]
	v_fma_f64 v[28:29], v[14:15], s[2:3], -v[217:218]
	;; [unrolled: 5-line block ×5, first 2 shown]
	v_add_f64 v[28:29], v[28:29], v[2:3]
	v_fma_f64 v[2:3], v[8:9], s[16:17], v[233:234]
	s_delay_alu instid0(VALU_DEP_1) | instskip(NEXT) | instid1(VALU_DEP_3)
	v_add_f64 v[2:3], v[2:3], v[0:1]
	v_add_f64 v[0:1], v[32:33], v[28:29]
	v_fma_f64 v[28:29], v[54:55], s[6:7], v[162:163]
	v_fma_f64 v[32:33], v[40:41], s[10:11], v[164:165]
	s_delay_alu instid0(VALU_DEP_2) | instskip(NEXT) | instid1(VALU_DEP_1)
	v_add_f64 v[28:29], v[4:5], v[28:29]
	v_add_f64 v[28:29], v[32:33], v[28:29]
	v_fma_f64 v[32:33], v[48:49], s[6:7], -v[166:167]
	s_delay_alu instid0(VALU_DEP_1) | instskip(NEXT) | instid1(VALU_DEP_1)
	v_add_f64 v[32:33], v[134:135], v[32:33]
	v_add_f64 v[32:33], v[36:37], v[32:33]
	v_fma_f64 v[36:37], v[30:31], s[14:15], v[168:169]
	s_delay_alu instid0(VALU_DEP_1) | instskip(SKIP_1) | instid1(VALU_DEP_1)
	v_add_f64 v[28:29], v[36:37], v[28:29]
	v_fma_f64 v[36:37], v[26:27], s[14:15], -v[174:175]
	v_add_f64 v[32:33], v[36:37], v[32:33]
	v_fma_f64 v[36:37], v[16:17], s[0:1], v[176:177]
	s_delay_alu instid0(VALU_DEP_1) | instskip(SKIP_1) | instid1(VALU_DEP_1)
	v_add_f64 v[28:29], v[36:37], v[28:29]
	v_fma_f64 v[36:37], v[14:15], s[0:1], -v[178:179]
	;; [unrolled: 5-line block ×5, first 2 shown]
	v_add_f64 v[32:33], v[36:37], v[32:33]
	v_fma_f64 v[36:37], v[8:9], s[4:5], v[192:193]
	s_delay_alu instid0(VALU_DEP_2) | instskip(NEXT) | instid1(VALU_DEP_2)
	v_add_f64 v[136:137], v[38:39], v[32:33]
	v_add_f64 v[138:139], v[36:37], v[28:29]
	scratch_load_b64 v[36:37], off, off offset:104 ; 8-byte Folded Reload
	v_fma_f64 v[28:29], v[54:55], s[2:3], v[56:57]
	v_fma_f64 v[32:33], v[54:55], s[4:5], v[78:79]
	v_fma_f64 v[38:39], v[48:49], s[2:3], -v[58:59]
	scratch_load_b64 v[58:59], off, off offset:112 ; 8-byte Folded Reload
	s_waitcnt vmcnt(2)
	v_fma_f64 v[44:45], v[48:49], s[0:1], -v[44:45]
	v_fma_f64 v[48:49], v[40:41], s[6:7], v[94:95]
	v_fma_f64 v[56:57], v[30:31], s[16:17], v[84:85]
	v_add_f64 v[28:29], v[4:5], v[28:29]
	v_add_f64 v[32:33], v[4:5], v[32:33]
	s_delay_alu instid0(VALU_DEP_2) | instskip(NEXT) | instid1(VALU_DEP_2)
	v_add_f64 v[28:29], v[46:47], v[28:29]
	v_add_f64 v[32:33], v[48:49], v[32:33]
	scratch_load_b64 v[46:47], off, off offset:72 ; 8-byte Folded Reload
	v_add_f64 v[32:33], v[56:57], v[32:33]
	s_waitcnt vmcnt(2)
	v_fma_f64 v[36:37], v[54:55], s[0:1], v[36:37]
	s_clause 0x1
	scratch_load_b64 v[54:55], off, off offset:96
	scratch_load_b64 v[48:49], off, off offset:80
	v_fma_f64 v[40:41], v[40:41], s[4:5], v[50:51]
	v_fma_f64 v[50:51], v[34:35], s[16:17], -v[62:63]
	v_add_f64 v[4:5], v[4:5], v[36:37]
	v_add_f64 v[36:37], v[134:135], v[38:39]
	;; [unrolled: 1-line block ×4, first 2 shown]
	v_fma_f64 v[44:45], v[26:27], s[16:17], -v[92:93]
	v_add_f64 v[4:5], v[40:41], v[4:5]
	v_add_f64 v[36:37], v[50:51], v[36:37]
	v_fma_f64 v[40:41], v[26:27], s[10:11], -v[66:67]
	v_add_f64 v[38:39], v[52:53], v[38:39]
	s_waitcnt vmcnt(2)
	v_fma_f64 v[26:27], v[26:27], s[2:3], -v[46:47]
	v_fma_f64 v[46:47], v[16:17], s[10:11], v[90:91]
	s_delay_alu instid0(VALU_DEP_4)
	v_add_f64 v[36:37], v[40:41], v[36:37]
	scratch_load_b64 v[40:41], off, off offset:184 ; 8-byte Folded Reload
	v_add_f64 v[38:39], v[44:45], v[38:39]
	scratch_load_b64 v[44:45], off, off offset:56 ; 8-byte Folded Reload
	v_add_f64 v[32:33], v[46:47], v[32:33]
	s_waitcnt vmcnt(3)
	v_fma_f64 v[34:35], v[34:35], s[4:5], -v[54:55]
	v_fma_f64 v[54:55], v[30:31], s[10:11], v[60:61]
	v_fma_f64 v[30:31], v[30:31], s[2:3], v[58:59]
	s_delay_alu instid0(VALU_DEP_3) | instskip(SKIP_1) | instid1(VALU_DEP_3)
	v_add_f64 v[34:35], v[34:35], v[42:43]
	v_fma_f64 v[42:43], v[16:17], s[14:15], v[68:69]
	v_add_f64 v[4:5], v[30:31], v[4:5]
	v_fma_f64 v[30:31], v[14:15], s[14:15], -v[116:117]
	v_add_f64 v[28:29], v[54:55], v[28:29]
	s_waitcnt vmcnt(2)
	v_fma_f64 v[16:17], v[16:17], s[6:7], v[48:49]
	scratch_load_b64 v[48:49], off, off offset:64 ; 8-byte Folded Reload
	v_add_f64 v[26:27], v[26:27], v[34:35]
	v_fma_f64 v[34:35], v[18:19], s[4:5], v[118:119]
	v_add_f64 v[30:31], v[30:31], v[36:37]
	v_add_f64 v[28:29], v[42:43], v[28:29]
	;; [unrolled: 1-line block ×3, first 2 shown]
	v_fma_f64 v[16:17], v[12:13], s[4:5], -v[70:71]
	scratch_load_b64 v[42:43], off, off offset:48 ; 8-byte Folded Reload
	s_waitcnt vmcnt(3)
	v_fma_f64 v[40:41], v[14:15], s[10:11], -v[40:41]
	v_add_f64 v[28:29], v[34:35], v[28:29]
	scratch_load_b64 v[34:35], off, off offset:160 ; 8-byte Folded Reload
	s_waitcnt vmcnt(3)
	v_fma_f64 v[14:15], v[14:15], s[6:7], -v[44:45]
	v_fma_f64 v[44:45], v[18:19], s[8:9], v[88:89]
	v_add_f64 v[16:17], v[16:17], v[30:31]
	v_add_f64 v[36:37], v[40:41], v[38:39]
	s_clause 0x1
	scratch_load_b64 v[38:39], off, off offset:168
	scratch_load_b64 v[40:41], off, off offset:40
	v_add_f64 v[14:15], v[14:15], v[26:27]
	v_add_f64 v[30:31], v[44:45], v[32:33]
	v_fma_f64 v[26:27], v[24:25], s[0:1], v[72:73]
	s_delay_alu instid0(VALU_DEP_1) | instskip(SKIP_2) | instid1(VALU_DEP_1)
	v_add_f64 v[26:27], v[26:27], v[28:29]
	s_waitcnt vmcnt(4)
	v_fma_f64 v[18:19], v[18:19], s[14:15], v[48:49]
	v_add_f64 v[4:5], v[18:19], v[4:5]
	v_fma_f64 v[18:19], v[22:23], s[0:1], -v[74:75]
	s_delay_alu instid0(VALU_DEP_1)
	v_add_f64 v[16:17], v[18:19], v[16:17]
	s_waitcnt vmcnt(1)
	v_fma_f64 v[38:39], v[12:13], s[8:9], -v[38:39]
	s_waitcnt vmcnt(0)
	v_fma_f64 v[12:13], v[12:13], s[14:15], -v[40:41]
	scratch_load_b64 v[40:41], off, off offset:176 ; 8-byte Folded Reload
	v_add_f64 v[32:33], v[38:39], v[36:37]
	s_clause 0x1
	scratch_load_b64 v[36:37], off, off offset:24
	scratch_load_b64 v[38:39], off, off offset:32
	v_add_f64 v[12:13], v[12:13], v[14:15]
	v_fma_f64 v[14:15], v[20:21], s[6:7], v[110:111]
	s_waitcnt vmcnt(2)
	v_fma_f64 v[40:41], v[24:25], s[14:15], v[40:41]
	v_fma_f64 v[24:25], v[24:25], s[16:17], v[42:43]
	v_add_nc_u32_e32 v42, 0x6f9, v196
	v_add_nc_u32_e32 v43, 0x770, v196
	s_delay_alu instid0(VALU_DEP_4)
	v_add_f64 v[18:19], v[40:41], v[30:31]
	scratch_load_b64 v[30:31], off, off offset:144 ; 8-byte Folded Reload
	v_fma_f64 v[34:35], v[22:23], s[14:15], -v[34:35]
	v_add_f64 v[4:5], v[24:25], v[4:5]
	v_fma_f64 v[24:25], v[10:11], s[6:7], -v[108:109]
	v_mad_u64_u32 v[40:41], null, s12, v43, 0
	s_delay_alu instid0(VALU_DEP_4)
	v_add_f64 v[28:29], v[34:35], v[32:33]
	s_clause 0x1
	scratch_load_b64 v[32:33], off, off offset:8
	scratch_load_b64 v[34:35], off, off offset:16
	s_waitcnt vmcnt(4)
	v_fma_f64 v[22:23], v[22:23], s[16:17], -v[36:37]
	scratch_load_b64 v[36:37], off, off offset:152 ; 8-byte Folded Reload
	v_add_f64 v[12:13], v[22:23], v[12:13]
	v_fma_f64 v[22:23], v[8:9], s[8:9], v[106:107]
	s_waitcnt vmcnt(3)
	v_fma_f64 v[30:31], v[10:11], s[2:3], -v[30:31]
	s_waitcnt vmcnt(2)
	v_fma_f64 v[10:11], v[10:11], s[8:9], -v[32:33]
	scratch_load_b64 v[32:33], off, off offset:136 ; 8-byte Folded Reload
	s_waitcnt vmcnt(2)
	v_fma_f64 v[34:35], v[8:9], s[10:11], v[34:35]
	s_waitcnt vmcnt(1)
	v_fma_f64 v[36:37], v[20:21], s[2:3], v[36:37]
	v_fma_f64 v[20:21], v[20:21], s[8:9], v[38:39]
	v_add_nc_u32_e32 v38, 0x594, v196
	v_add_f64 v[12:13], v[10:11], v[12:13]
	v_add_nc_u32_e32 v10, 0x682, v196
	s_delay_alu instid0(VALU_DEP_4)
	v_add_f64 v[20:21], v[20:21], v[4:5]
	scratch_load_b64 v[4:5], off, off offset:128 ; 8-byte Folded Reload
	s_waitcnt vmcnt(1)
	v_fma_f64 v[32:33], v[8:9], s[0:1], v[32:33]
	v_add_f64 v[8:9], v[14:15], v[26:27]
	v_add_f64 v[14:15], v[24:25], v[16:17]
	;; [unrolled: 1-line block ×4, first 2 shown]
	v_fma_f64 v[18:19], v[6:7], s[8:9], -v[104:105]
	v_mad_u64_u32 v[26:27], null, s12, v38, 0
	v_add_nc_u32_e32 v39, 0x60b, v196
	s_waitcnt vmcnt(0)
	v_fma_f64 v[28:29], v[6:7], s[0:1], -v[4:5]
	scratch_load_b64 v[4:5], off, off       ; 8-byte Folded Reload
	s_waitcnt vmcnt(0)
	v_fma_f64 v[30:31], v[6:7], s[10:11], -v[4:5]
	v_mov_b32_e32 v4, v27
	v_mad_u64_u32 v[36:37], null, s12, v39, 0
	s_delay_alu instid0(VALU_DEP_2) | instskip(NEXT) | instid1(VALU_DEP_2)
	v_mad_u64_u32 v[5:6], null, s13, v38, v[4:5]
	v_mov_b32_e32 v4, v37
	s_delay_alu instid0(VALU_DEP_2) | instskip(NEXT) | instid1(VALU_DEP_2)
	v_mov_b32_e32 v27, v5
	v_mad_u64_u32 v[5:6], null, s13, v39, v[4:5]
	v_mad_u64_u32 v[38:39], null, s12, v10, 0
	v_add_f64 v[6:7], v[22:23], v[8:9]
	v_mad_u64_u32 v[22:23], null, s12, v42, 0
	v_lshlrev_b64 v[26:27], 4, v[26:27]
	v_mov_b32_e32 v37, v5
	v_add_f64 v[4:5], v[18:19], v[14:15]
	v_mov_b32_e32 v8, v39
	v_add_f64 v[14:15], v[34:35], v[20:21]
	s_delay_alu instid0(VALU_DEP_2)
	v_mad_u64_u32 v[18:19], null, s13, v10, v[8:9]
	v_add_f64 v[10:11], v[32:33], v[16:17]
	v_add_f64 v[8:9], v[28:29], v[24:25]
	v_dual_mov_b32 v16, v23 :: v_dual_mov_b32 v17, v41
	v_lshlrev_b64 v[19:20], 4, v[36:37]
	v_add_f64 v[12:13], v[30:31], v[12:13]
	v_mov_b32_e32 v39, v18
	s_delay_alu instid0(VALU_DEP_4)
	v_mad_u64_u32 v[23:24], null, s13, v42, v[16:17]
	v_mad_u64_u32 v[24:25], null, s13, v43, v[17:18]
	v_add_co_u32 v16, vcc_lo, v197, v26
	v_add_co_ci_u32_e32 v17, vcc_lo, v198, v27, vcc_lo
	v_lshlrev_b64 v[25:26], 4, v[38:39]
	v_add_co_u32 v18, vcc_lo, v197, v19
	v_mov_b32_e32 v41, v24
	v_add_co_ci_u32_e32 v19, vcc_lo, v198, v20, vcc_lo
	v_lshlrev_b64 v[20:21], 4, v[22:23]
	v_add_co_u32 v22, vcc_lo, v197, v25
	s_delay_alu instid0(VALU_DEP_4) | instskip(SKIP_1) | instid1(VALU_DEP_4)
	v_lshlrev_b64 v[24:25], 4, v[40:41]
	v_add_co_ci_u32_e32 v23, vcc_lo, v198, v26, vcc_lo
	v_add_co_u32 v20, vcc_lo, v197, v20
	v_add_co_ci_u32_e32 v21, vcc_lo, v198, v21, vcc_lo
	s_delay_alu instid0(VALU_DEP_4)
	v_add_co_u32 v24, vcc_lo, v197, v24
	v_add_co_ci_u32_e32 v25, vcc_lo, v198, v25, vcc_lo
	s_clause 0x4
	global_store_b128 v[16:17], v[0:3], off
	global_store_b128 v[18:19], v[136:139], off
	;; [unrolled: 1-line block ×5, first 2 shown]
.LBB0_23:
	s_endpgm
	.section	.rodata,"a",@progbits
	.p2align	6, 0x0
	.amdhsa_kernel fft_rtc_back_len2023_factors_17_7_17_wgs_119_tpt_119_halfLds_dp_op_CI_CI_sbrr_dirReg
		.amdhsa_group_segment_fixed_size 0
		.amdhsa_private_segment_fixed_size 196
		.amdhsa_kernarg_size 104
		.amdhsa_user_sgpr_count 15
		.amdhsa_user_sgpr_dispatch_ptr 0
		.amdhsa_user_sgpr_queue_ptr 0
		.amdhsa_user_sgpr_kernarg_segment_ptr 1
		.amdhsa_user_sgpr_dispatch_id 0
		.amdhsa_user_sgpr_private_segment_size 0
		.amdhsa_wavefront_size32 1
		.amdhsa_uses_dynamic_stack 0
		.amdhsa_enable_private_segment 1
		.amdhsa_system_sgpr_workgroup_id_x 1
		.amdhsa_system_sgpr_workgroup_id_y 0
		.amdhsa_system_sgpr_workgroup_id_z 0
		.amdhsa_system_sgpr_workgroup_info 0
		.amdhsa_system_vgpr_workitem_id 0
		.amdhsa_next_free_vgpr 256
		.amdhsa_next_free_sgpr 60
		.amdhsa_reserve_vcc 1
		.amdhsa_float_round_mode_32 0
		.amdhsa_float_round_mode_16_64 0
		.amdhsa_float_denorm_mode_32 3
		.amdhsa_float_denorm_mode_16_64 3
		.amdhsa_dx10_clamp 1
		.amdhsa_ieee_mode 1
		.amdhsa_fp16_overflow 0
		.amdhsa_workgroup_processor_mode 1
		.amdhsa_memory_ordered 1
		.amdhsa_forward_progress 0
		.amdhsa_shared_vgpr_count 0
		.amdhsa_exception_fp_ieee_invalid_op 0
		.amdhsa_exception_fp_denorm_src 0
		.amdhsa_exception_fp_ieee_div_zero 0
		.amdhsa_exception_fp_ieee_overflow 0
		.amdhsa_exception_fp_ieee_underflow 0
		.amdhsa_exception_fp_ieee_inexact 0
		.amdhsa_exception_int_div_zero 0
	.end_amdhsa_kernel
	.text
.Lfunc_end0:
	.size	fft_rtc_back_len2023_factors_17_7_17_wgs_119_tpt_119_halfLds_dp_op_CI_CI_sbrr_dirReg, .Lfunc_end0-fft_rtc_back_len2023_factors_17_7_17_wgs_119_tpt_119_halfLds_dp_op_CI_CI_sbrr_dirReg
                                        ; -- End function
	.section	.AMDGPU.csdata,"",@progbits
; Kernel info:
; codeLenInByte = 22268
; NumSgprs: 62
; NumVgprs: 256
; ScratchSize: 196
; MemoryBound: 1
; FloatMode: 240
; IeeeMode: 1
; LDSByteSize: 0 bytes/workgroup (compile time only)
; SGPRBlocks: 7
; VGPRBlocks: 31
; NumSGPRsForWavesPerEU: 62
; NumVGPRsForWavesPerEU: 256
; Occupancy: 5
; WaveLimiterHint : 1
; COMPUTE_PGM_RSRC2:SCRATCH_EN: 1
; COMPUTE_PGM_RSRC2:USER_SGPR: 15
; COMPUTE_PGM_RSRC2:TRAP_HANDLER: 0
; COMPUTE_PGM_RSRC2:TGID_X_EN: 1
; COMPUTE_PGM_RSRC2:TGID_Y_EN: 0
; COMPUTE_PGM_RSRC2:TGID_Z_EN: 0
; COMPUTE_PGM_RSRC2:TIDIG_COMP_CNT: 0
	.text
	.p2alignl 7, 3214868480
	.fill 96, 4, 3214868480
	.type	__hip_cuid_ab56957480739b3,@object ; @__hip_cuid_ab56957480739b3
	.section	.bss,"aw",@nobits
	.globl	__hip_cuid_ab56957480739b3
__hip_cuid_ab56957480739b3:
	.byte	0                               ; 0x0
	.size	__hip_cuid_ab56957480739b3, 1

	.ident	"AMD clang version 19.0.0git (https://github.com/RadeonOpenCompute/llvm-project roc-6.4.0 25133 c7fe45cf4b819c5991fe208aaa96edf142730f1d)"
	.section	".note.GNU-stack","",@progbits
	.addrsig
	.addrsig_sym __hip_cuid_ab56957480739b3
	.amdgpu_metadata
---
amdhsa.kernels:
  - .args:
      - .actual_access:  read_only
        .address_space:  global
        .offset:         0
        .size:           8
        .value_kind:     global_buffer
      - .offset:         8
        .size:           8
        .value_kind:     by_value
      - .actual_access:  read_only
        .address_space:  global
        .offset:         16
        .size:           8
        .value_kind:     global_buffer
      - .actual_access:  read_only
        .address_space:  global
        .offset:         24
        .size:           8
        .value_kind:     global_buffer
      - .actual_access:  read_only
        .address_space:  global
        .offset:         32
        .size:           8
        .value_kind:     global_buffer
      - .offset:         40
        .size:           8
        .value_kind:     by_value
      - .actual_access:  read_only
        .address_space:  global
        .offset:         48
        .size:           8
        .value_kind:     global_buffer
      - .actual_access:  read_only
        .address_space:  global
        .offset:         56
        .size:           8
        .value_kind:     global_buffer
      - .offset:         64
        .size:           4
        .value_kind:     by_value
      - .actual_access:  read_only
        .address_space:  global
        .offset:         72
        .size:           8
        .value_kind:     global_buffer
      - .actual_access:  read_only
        .address_space:  global
        .offset:         80
        .size:           8
        .value_kind:     global_buffer
      - .actual_access:  read_only
        .address_space:  global
        .offset:         88
        .size:           8
        .value_kind:     global_buffer
      - .actual_access:  write_only
        .address_space:  global
        .offset:         96
        .size:           8
        .value_kind:     global_buffer
    .group_segment_fixed_size: 0
    .kernarg_segment_align: 8
    .kernarg_segment_size: 104
    .language:       OpenCL C
    .language_version:
      - 2
      - 0
    .max_flat_workgroup_size: 119
    .name:           fft_rtc_back_len2023_factors_17_7_17_wgs_119_tpt_119_halfLds_dp_op_CI_CI_sbrr_dirReg
    .private_segment_fixed_size: 196
    .sgpr_count:     62
    .sgpr_spill_count: 0
    .symbol:         fft_rtc_back_len2023_factors_17_7_17_wgs_119_tpt_119_halfLds_dp_op_CI_CI_sbrr_dirReg.kd
    .uniform_work_group_size: 1
    .uses_dynamic_stack: false
    .vgpr_count:     256
    .vgpr_spill_count: 48
    .wavefront_size: 32
    .workgroup_processor_mode: 1
amdhsa.target:   amdgcn-amd-amdhsa--gfx1100
amdhsa.version:
  - 1
  - 2
...

	.end_amdgpu_metadata
